;; amdgpu-corpus repo=ROCm/rocFFT kind=compiled arch=gfx906 opt=O3
	.text
	.amdgcn_target "amdgcn-amd-amdhsa--gfx906"
	.amdhsa_code_object_version 6
	.protected	bluestein_single_back_len585_dim1_dp_op_CI_CI ; -- Begin function bluestein_single_back_len585_dim1_dp_op_CI_CI
	.globl	bluestein_single_back_len585_dim1_dp_op_CI_CI
	.p2align	8
	.type	bluestein_single_back_len585_dim1_dp_op_CI_CI,@function
bluestein_single_back_len585_dim1_dp_op_CI_CI: ; @bluestein_single_back_len585_dim1_dp_op_CI_CI
; %bb.0:
	v_mul_u32_u24_e32 v1, 0x3f1, v0
	s_load_dwordx4 s[0:3], s[4:5], 0x28
	v_lshrrev_b32_e32 v1, 16, v1
	v_mad_u64_u32 v[136:137], s[6:7], s6, 3, v[1:2]
	v_mov_b32_e32 v137, 0
	s_waitcnt lgkmcnt(0)
	v_cmp_gt_u64_e32 vcc, s[0:1], v[136:137]
	s_and_saveexec_b64 s[0:1], vcc
	s_cbranch_execz .LBB0_23
; %bb.1:
	s_mov_b32 s0, 0xaaaaaaab
	v_mul_hi_u32 v2, v136, s0
	v_mul_lo_u16_e32 v1, 0x41, v1
	s_load_dwordx2 s[14:15], s[4:5], 0x0
	s_load_dwordx2 s[12:13], s[4:5], 0x38
	v_sub_u16_e32 v209, v0, v1
	v_lshrrev_b32_e32 v0, 1, v2
	v_lshl_add_u32 v0, v0, 1, v0
	v_sub_u32_e32 v0, v136, v0
	v_mul_u32_u24_e32 v205, 0x249, v0
	v_cmp_gt_u16_e64 s[0:1], 45, v209
	v_lshlrev_b32_e32 v210, 4, v209
	v_lshlrev_b32_e32 v211, 4, v205
	s_and_saveexec_b64 s[6:7], s[0:1]
	s_cbranch_execz .LBB0_3
; %bb.2:
	s_load_dwordx2 s[8:9], s[4:5], 0x18
	s_waitcnt lgkmcnt(0)
	s_load_dwordx4 s[8:11], s[8:9], 0x0
	s_waitcnt lgkmcnt(0)
	v_mad_u64_u32 v[0:1], s[16:17], s10, v136, 0
	v_mad_u64_u32 v[2:3], s[16:17], s8, v209, 0
	;; [unrolled: 1-line block ×4, first 2 shown]
	v_mov_b32_e32 v1, v4
	v_lshlrev_b64 v[0:1], 4, v[0:1]
	v_mov_b32_e32 v3, v5
	v_mov_b32_e32 v6, s3
	v_lshlrev_b64 v[2:3], 4, v[2:3]
	v_add_co_u32_e32 v0, vcc, s2, v0
	v_addc_co_u32_e32 v1, vcc, v6, v1, vcc
	v_add_co_u32_e32 v12, vcc, v0, v2
	v_addc_co_u32_e32 v13, vcc, v1, v3, vcc
	v_mov_b32_e32 v0, s15
	v_add_co_u32_e32 v100, vcc, s14, v210
	s_mul_i32 s2, s9, 0x2d0
	s_mul_hi_u32 s3, s8, 0x2d0
	v_addc_co_u32_e32 v101, vcc, 0, v0, vcc
	s_add_i32 s2, s3, s2
	s_mul_i32 s3, s8, 0x2d0
	global_load_dwordx4 v[0:3], v210, s[14:15]
	v_mov_b32_e32 v4, s2
	v_add_co_u32_e32 v14, vcc, s3, v12
	v_addc_co_u32_e32 v15, vcc, v13, v4, vcc
	global_load_dwordx4 v[4:7], v[12:13], off
	global_load_dwordx4 v[8:11], v[14:15], off
	v_mov_b32_e32 v12, s2
	v_add_co_u32_e32 v28, vcc, s3, v14
	v_addc_co_u32_e32 v29, vcc, v15, v12, vcc
	v_mov_b32_e32 v20, s2
	v_add_co_u32_e32 v30, vcc, s3, v28
	v_addc_co_u32_e32 v31, vcc, v29, v20, vcc
	global_load_dwordx4 v[12:15], v210, s[14:15] offset:720
	global_load_dwordx4 v[16:19], v210, s[14:15] offset:1440
	global_load_dwordx4 v[20:23], v[28:29], off
	global_load_dwordx4 v[24:27], v[30:31], off
	v_mov_b32_e32 v28, s2
	v_add_co_u32_e32 v40, vcc, s3, v30
	v_addc_co_u32_e32 v41, vcc, v31, v28, vcc
	v_mov_b32_e32 v42, s2
	v_add_co_u32_e32 v48, vcc, s3, v40
	global_load_dwordx4 v[28:31], v[40:41], off
	global_load_dwordx4 v[32:35], v210, s[14:15] offset:2160
	global_load_dwordx4 v[36:39], v210, s[14:15] offset:2880
	v_addc_co_u32_e32 v49, vcc, v41, v42, vcc
	v_mov_b32_e32 v50, s2
	v_add_co_u32_e32 v52, vcc, s3, v48
	v_addc_co_u32_e32 v53, vcc, v49, v50, vcc
	s_movk_i32 s8, 0x1000
	v_add_co_u32_e32 v96, vcc, s8, v100
	v_addc_co_u32_e32 v97, vcc, 0, v101, vcc
	v_mov_b32_e32 v54, s2
	v_add_co_u32_e32 v64, vcc, s3, v52
	v_addc_co_u32_e32 v65, vcc, v53, v54, vcc
	v_mov_b32_e32 v66, s2
	;; [unrolled: 3-line block ×4, first 2 shown]
	v_add_co_u32_e32 v84, vcc, s3, v80
	global_load_dwordx4 v[40:43], v[48:49], off
	global_load_dwordx4 v[44:47], v210, s[14:15] offset:3600
	v_addc_co_u32_e32 v85, vcc, v81, v82, vcc
	global_load_dwordx4 v[48:51], v[52:53], off
	v_mov_b32_e32 v86, s2
	v_add_co_u32_e32 v98, vcc, s3, v84
	global_load_dwordx4 v[52:55], v[64:65], off
	global_load_dwordx4 v[56:59], v[96:97], off offset:224
	global_load_dwordx4 v[60:63], v[96:97], off offset:944
	v_addc_co_u32_e32 v99, vcc, v85, v86, vcc
	global_load_dwordx4 v[64:67], v[68:69], off
	s_nop 0
	global_load_dwordx4 v[68:71], v[80:81], off
	global_load_dwordx4 v[72:75], v[96:97], off offset:1664
	global_load_dwordx4 v[76:79], v[96:97], off offset:2384
	s_waitcnt vmcnt(18)
	v_mul_f64 v[104:105], v[6:7], v[2:3]
	global_load_dwordx4 v[80:83], v[84:85], off
	s_nop 0
	global_load_dwordx4 v[84:87], v[98:99], off
	global_load_dwordx4 v[88:91], v[96:97], off offset:3104
	global_load_dwordx4 v[92:95], v[96:97], off offset:3824
	v_mov_b32_e32 v97, s2
	v_add_co_u32_e32 v96, vcc, s3, v98
	v_addc_co_u32_e32 v97, vcc, v99, v97, vcc
	s_movk_i32 s2, 0x2000
	v_add_co_u32_e32 v100, vcc, s2, v100
	v_addc_co_u32_e32 v101, vcc, 0, v101, vcc
	global_load_dwordx4 v[96:99], v[96:97], off
	v_mul_f64 v[106:107], v[4:5], v[2:3]
	global_load_dwordx4 v[100:103], v[100:101], off offset:448
	v_fma_f64 v[2:3], v[4:5], v[0:1], v[104:105]
	s_waitcnt vmcnt(20)
	v_mul_f64 v[104:105], v[22:23], v[18:19]
	v_mul_f64 v[18:19], v[20:21], v[18:19]
	v_fma_f64 v[4:5], v[6:7], v[0:1], -v[106:107]
	v_mul_f64 v[0:1], v[10:11], v[14:15]
	v_mul_f64 v[14:15], v[8:9], v[14:15]
	s_waitcnt vmcnt(17)
	v_mul_f64 v[106:107], v[26:27], v[34:35]
	v_mul_f64 v[34:35], v[24:25], v[34:35]
	s_waitcnt vmcnt(16)
	v_mul_f64 v[108:109], v[30:31], v[38:39]
	v_mul_f64 v[38:39], v[28:29], v[38:39]
	v_fma_f64 v[6:7], v[8:9], v[12:13], v[0:1]
	v_fma_f64 v[8:9], v[10:11], v[12:13], -v[14:15]
	v_fma_f64 v[10:11], v[20:21], v[16:17], v[104:105]
	v_fma_f64 v[12:13], v[22:23], v[16:17], -v[18:19]
	;; [unrolled: 2-line block ×4, first 2 shown]
	v_lshl_add_u32 v0, v209, 4, v211
	ds_write_b128 v0, v[2:5]
	v_add_u32_e32 v32, v211, v210
	ds_write_b128 v32, v[6:9] offset:720
	ds_write_b128 v32, v[10:13] offset:1440
	;; [unrolled: 1-line block ×4, first 2 shown]
	s_waitcnt vmcnt(14)
	v_mul_f64 v[0:1], v[42:43], v[46:47]
	v_mul_f64 v[2:3], v[40:41], v[46:47]
	s_waitcnt vmcnt(11)
	v_mul_f64 v[4:5], v[50:51], v[58:59]
	v_mul_f64 v[6:7], v[48:49], v[58:59]
	;; [unrolled: 3-line block ×5, first 2 shown]
	v_fma_f64 v[0:1], v[40:41], v[44:45], v[0:1]
	v_fma_f64 v[2:3], v[42:43], v[44:45], -v[2:3]
	v_fma_f64 v[4:5], v[48:49], v[56:57], v[4:5]
	v_fma_f64 v[6:7], v[50:51], v[56:57], -v[6:7]
	;; [unrolled: 2-line block ×5, first 2 shown]
	s_waitcnt vmcnt(3)
	v_mul_f64 v[20:21], v[82:83], v[90:91]
	v_mul_f64 v[22:23], v[80:81], v[90:91]
	s_waitcnt vmcnt(2)
	v_mul_f64 v[24:25], v[86:87], v[94:95]
	v_mul_f64 v[26:27], v[84:85], v[94:95]
	v_fma_f64 v[20:21], v[80:81], v[88:89], v[20:21]
	v_fma_f64 v[22:23], v[82:83], v[88:89], -v[22:23]
	v_fma_f64 v[24:25], v[84:85], v[92:93], v[24:25]
	v_fma_f64 v[26:27], v[86:87], v[92:93], -v[26:27]
	s_waitcnt vmcnt(0)
	v_mul_f64 v[28:29], v[98:99], v[102:103]
	v_mul_f64 v[30:31], v[96:97], v[102:103]
	v_fma_f64 v[28:29], v[96:97], v[100:101], v[28:29]
	v_fma_f64 v[30:31], v[98:99], v[100:101], -v[30:31]
	ds_write_b128 v32, v[0:3] offset:3600
	ds_write_b128 v32, v[4:7] offset:4320
	;; [unrolled: 1-line block ×8, first 2 shown]
.LBB0_3:
	s_or_b64 exec, exec, s[6:7]
	s_waitcnt lgkmcnt(0)
	s_barrier
	s_waitcnt lgkmcnt(0)
                                        ; implicit-def: $vgpr12_vgpr13
                                        ; implicit-def: $vgpr16_vgpr17
                                        ; implicit-def: $vgpr20_vgpr21
                                        ; implicit-def: $vgpr24_vgpr25
                                        ; implicit-def: $vgpr28_vgpr29
                                        ; implicit-def: $vgpr32_vgpr33
                                        ; implicit-def: $vgpr36_vgpr37
                                        ; implicit-def: $vgpr40_vgpr41
                                        ; implicit-def: $vgpr44_vgpr45
                                        ; implicit-def: $vgpr48_vgpr49
                                        ; implicit-def: $vgpr52_vgpr53
                                        ; implicit-def: $vgpr56_vgpr57
                                        ; implicit-def: $vgpr60_vgpr61
	s_and_saveexec_b64 s[2:3], s[0:1]
	s_cbranch_execz .LBB0_5
; %bb.4:
	v_lshl_add_u32 v0, v205, 4, v210
	ds_read_b128 v[12:15], v0
	ds_read_b128 v[16:19], v0 offset:720
	ds_read_b128 v[20:23], v0 offset:1440
	;; [unrolled: 1-line block ×12, first 2 shown]
.LBB0_5:
	s_or_b64 exec, exec, s[2:3]
	s_waitcnt lgkmcnt(0)
	v_add_f64 v[66:67], v[18:19], -v[62:63]
	v_add_f64 v[64:65], v[16:17], -v[60:61]
	s_mov_b32 s9, 0xbfddbe06
	s_mov_b32 s8, 0x4267c47c
	v_add_f64 v[98:99], v[16:17], v[60:61]
	v_add_f64 v[100:101], v[18:19], v[62:63]
	v_add_f64 v[74:75], v[22:23], -v[58:59]
	v_add_f64 v[72:73], v[20:21], -v[56:57]
	v_mul_f64 v[84:85], v[66:67], s[8:9]
	v_mul_f64 v[86:87], v[64:65], s[8:9]
	s_mov_b32 s6, 0xe00740e9
	s_mov_b32 s18, 0x42a4c3d2
	s_mov_b32 s7, 0x3fec55a7
	s_mov_b32 s19, 0xbfea55e2
	v_add_f64 v[110:111], v[20:21], v[56:57]
	v_add_f64 v[112:113], v[22:23], v[58:59]
	v_fma_f64 v[0:1], v[98:99], s[6:7], v[84:85]
	v_fma_f64 v[2:3], v[100:101], s[6:7], -v[86:87]
	v_mul_f64 v[88:89], v[74:75], s[18:19]
	v_mul_f64 v[90:91], v[72:73], s[18:19]
	v_add_f64 v[78:79], v[26:27], -v[54:55]
	v_add_f64 v[76:77], v[24:25], -v[52:53]
	s_mov_b32 s2, 0x1ea71119
	s_mov_b32 s28, 0x66966769
	;; [unrolled: 1-line block ×4, first 2 shown]
	v_add_f64 v[0:1], v[12:13], v[0:1]
	v_add_f64 v[2:3], v[14:15], v[2:3]
	v_fma_f64 v[4:5], v[110:111], s[2:3], v[88:89]
	v_fma_f64 v[6:7], v[112:113], s[2:3], -v[90:91]
	v_add_f64 v[120:121], v[24:25], v[52:53]
	v_add_f64 v[122:123], v[26:27], v[54:55]
	v_mul_f64 v[92:93], v[78:79], s[28:29]
	v_mul_f64 v[94:95], v[76:77], s[28:29]
	v_add_f64 v[80:81], v[30:31], -v[50:51]
	v_add_f64 v[82:83], v[28:29], -v[48:49]
	s_mov_b32 s10, 0xebaa3ed8
	s_mov_b32 s22, 0x2ef20147
	;; [unrolled: 1-line block ×4, first 2 shown]
	v_add_f64 v[0:1], v[4:5], v[0:1]
	v_add_f64 v[2:3], v[6:7], v[2:3]
	v_fma_f64 v[4:5], v[120:121], s[10:11], v[92:93]
	v_add_f64 v[128:129], v[28:29], v[48:49]
	v_mul_f64 v[96:97], v[80:81], s[22:23]
	v_fma_f64 v[6:7], v[122:123], s[10:11], -v[94:95]
	v_add_f64 v[206:207], v[34:35], -v[46:47]
	v_add_f64 v[145:146], v[30:31], v[50:51]
	v_mul_f64 v[104:105], v[82:83], s[22:23]
	s_mov_b32 s16, 0xb2365da1
	s_mov_b32 s26, 0x24c2f84
	;; [unrolled: 1-line block ×4, first 2 shown]
	v_add_f64 v[0:1], v[4:5], v[0:1]
	v_fma_f64 v[4:5], v[128:129], s[16:17], v[96:97]
	v_add_f64 v[141:142], v[32:33], v[44:45]
	v_mul_f64 v[102:103], v[206:207], s[26:27]
	v_add_f64 v[212:213], v[32:33], -v[44:45]
	v_add_f64 v[2:3], v[6:7], v[2:3]
	v_fma_f64 v[6:7], v[145:146], s[16:17], -v[104:105]
	v_mul_f64 v[116:117], v[66:67], s[18:19]
	v_mul_f64 v[151:152], v[64:65], s[18:19]
	s_mov_b32 s20, 0xd0032e0c
	s_mov_b32 s21, 0xbfe7f3cc
	v_add_f64 v[0:1], v[4:5], v[0:1]
	v_fma_f64 v[4:5], v[141:142], s[20:21], v[102:103]
	v_add_f64 v[147:148], v[34:35], v[46:47]
	v_mul_f64 v[106:107], v[212:213], s[26:27]
	v_add_f64 v[2:3], v[6:7], v[2:3]
	v_add_f64 v[214:215], v[38:39], -v[42:43]
	v_fma_f64 v[6:7], v[98:99], s[2:3], v[116:117]
	v_mul_f64 v[118:119], v[74:75], s[22:23]
	v_fma_f64 v[8:9], v[100:101], s[2:3], -v[151:152]
	v_mul_f64 v[130:131], v[72:73], s[22:23]
	v_add_f64 v[216:217], v[36:37], -v[40:41]
	s_mov_b32 s34, 0x4bc48dbf
	s_mov_b32 s35, 0xbfcea1e5
	v_add_f64 v[0:1], v[4:5], v[0:1]
	v_fma_f64 v[4:5], v[147:148], s[20:21], -v[106:107]
	v_add_f64 v[165:166], v[36:37], v[40:41]
	v_mul_f64 v[108:109], v[214:215], s[34:35]
	v_add_f64 v[6:7], v[12:13], v[6:7]
	v_fma_f64 v[10:11], v[110:111], s[16:17], v[118:119]
	v_add_f64 v[8:9], v[14:15], v[8:9]
	v_fma_f64 v[68:69], v[112:113], s[16:17], -v[130:131]
	v_mul_f64 v[124:125], v[78:79], s[34:35]
	v_mul_f64 v[134:135], v[76:77], s[34:35]
	v_add_f64 v[169:170], v[38:39], v[42:43]
	v_mul_f64 v[114:115], v[216:217], s[34:35]
	s_mov_b32 s24, 0x93053d00
	s_mov_b32 s25, 0xbfef11f4
	;; [unrolled: 1-line block ×4, first 2 shown]
	v_fma_f64 v[70:71], v[165:166], s[24:25], v[108:109]
	v_add_f64 v[6:7], v[10:11], v[6:7]
	v_add_f64 v[8:9], v[68:69], v[8:9]
	v_fma_f64 v[10:11], v[120:121], s[24:25], v[124:125]
	v_fma_f64 v[68:69], v[122:123], s[24:25], -v[134:135]
	v_mul_f64 v[126:127], v[80:81], s[36:37]
	v_mul_f64 v[137:138], v[82:83], s[36:37]
	v_add_f64 v[2:3], v[4:5], v[2:3]
	v_fma_f64 v[4:5], v[169:170], s[24:25], -v[114:115]
	v_mul_f64 v[149:150], v[66:67], s[28:29]
	v_mul_f64 v[177:178], v[64:65], s[28:29]
	s_mov_b32 s31, 0x3fefc445
	s_mov_b32 s30, s28
	v_add_f64 v[0:1], v[70:71], v[0:1]
	v_add_f64 v[6:7], v[10:11], v[6:7]
	;; [unrolled: 1-line block ×3, first 2 shown]
	v_fma_f64 v[10:11], v[128:129], s[20:21], v[126:127]
	v_fma_f64 v[68:69], v[145:146], s[20:21], -v[137:138]
	v_mul_f64 v[132:133], v[206:207], s[30:31]
	v_add_f64 v[2:3], v[4:5], v[2:3]
	v_mul_f64 v[143:144], v[212:213], s[30:31]
	v_fma_f64 v[4:5], v[98:99], s[10:11], v[149:150]
	v_mul_f64 v[153:154], v[74:75], s[34:35]
	v_fma_f64 v[70:71], v[100:101], s[10:11], -v[177:178]
	v_mul_f64 v[179:180], v[72:73], s[34:35]
	s_mov_b32 s39, 0x3fedeba7
	s_mov_b32 s38, s22
	v_add_f64 v[6:7], v[10:11], v[6:7]
	v_add_f64 v[8:9], v[68:69], v[8:9]
	v_fma_f64 v[10:11], v[141:142], s[10:11], v[132:133]
	v_fma_f64 v[68:69], v[147:148], s[10:11], -v[143:144]
	v_add_f64 v[4:5], v[12:13], v[4:5]
	v_fma_f64 v[157:158], v[110:111], s[24:25], v[153:154]
	v_add_f64 v[70:71], v[14:15], v[70:71]
	v_mul_f64 v[155:156], v[78:79], s[38:39]
	v_fma_f64 v[159:160], v[112:113], s[24:25], -v[179:180]
	v_mul_f64 v[161:162], v[76:77], s[38:39]
	s_mov_b32 s9, 0x3fddbe06
	v_add_f64 v[6:7], v[10:11], v[6:7]
	v_mul_f64 v[139:140], v[214:215], s[8:9]
	v_add_f64 v[8:9], v[68:69], v[8:9]
	v_add_f64 v[4:5], v[157:158], v[4:5]
	v_fma_f64 v[10:11], v[120:121], s[16:17], v[155:156]
	v_add_f64 v[68:69], v[159:160], v[70:71]
	v_fma_f64 v[70:71], v[122:123], s[16:17], -v[161:162]
	v_mul_f64 v[159:160], v[80:81], s[8:9]
	v_mul_f64 v[183:184], v[66:67], s[22:23]
	v_mul_f64 v[199:200], v[64:65], s[22:23]
	v_mul_f64 v[163:164], v[82:83], s[8:9]
	v_fma_f64 v[167:168], v[165:166], s[6:7], v[139:140]
	v_add_f64 v[10:11], v[10:11], v[4:5]
	v_mul_f64 v[185:186], v[74:75], s[36:37]
	v_add_f64 v[68:69], v[70:71], v[68:69]
	v_fma_f64 v[70:71], v[128:129], s[6:7], v[159:160]
	v_fma_f64 v[175:176], v[98:99], s[16:17], v[183:184]
	v_fma_f64 v[181:182], v[100:101], s[16:17], -v[199:200]
	v_mul_f64 v[197:198], v[72:73], s[36:37]
	v_fma_f64 v[171:172], v[145:146], s[6:7], -v[163:164]
	v_add_f64 v[4:5], v[167:168], v[6:7]
	v_mul_f64 v[167:168], v[206:207], s[18:19]
	v_mul_f64 v[173:174], v[212:213], s[18:19]
	v_add_f64 v[10:11], v[70:71], v[10:11]
	v_add_f64 v[70:71], v[12:13], v[175:176]
	v_fma_f64 v[189:190], v[110:111], s[20:21], v[185:186]
	v_add_f64 v[181:182], v[14:15], v[181:182]
	v_fma_f64 v[191:192], v[112:113], s[20:21], -v[197:198]
	v_mul_f64 v[187:188], v[78:79], s[8:9]
	v_mul_f64 v[201:202], v[76:77], s[8:9]
	;; [unrolled: 1-line block ×3, first 2 shown]
	v_add_f64 v[68:69], v[171:172], v[68:69]
	v_fma_f64 v[195:196], v[141:142], s[2:3], v[167:168]
	v_fma_f64 v[203:204], v[147:148], s[2:3], -v[173:174]
	v_mul_f64 v[171:172], v[214:215], s[26:27]
	v_mul_f64 v[175:176], v[216:217], s[26:27]
	v_add_f64 v[70:71], v[189:190], v[70:71]
	v_add_f64 v[181:182], v[191:192], v[181:182]
	v_fma_f64 v[191:192], v[120:121], s[6:7], v[187:188]
	v_fma_f64 v[218:219], v[122:123], s[6:7], -v[201:202]
	v_mul_f64 v[189:190], v[80:81], s[28:29]
	v_fma_f64 v[6:7], v[169:170], s[6:7], -v[157:158]
	v_mul_f64 v[193:194], v[82:83], s[28:29]
	v_add_f64 v[10:11], v[195:196], v[10:11]
	v_add_f64 v[68:69], v[203:204], v[68:69]
	v_fma_f64 v[203:204], v[165:166], s[20:21], v[171:172]
	v_fma_f64 v[220:221], v[169:170], s[20:21], -v[175:176]
	v_add_f64 v[70:71], v[191:192], v[70:71]
	v_add_f64 v[191:192], v[218:219], v[181:182]
	v_fma_f64 v[218:219], v[128:129], s[10:11], v[189:190]
	v_fma_f64 v[222:223], v[145:146], s[10:11], -v[193:194]
	v_add_f64 v[6:7], v[6:7], v[8:9]
	v_mul_f64 v[224:225], v[66:67], s[26:27]
	v_add_f64 v[8:9], v[203:204], v[10:11]
	v_add_f64 v[10:11], v[220:221], v[68:69]
	s_mov_b32 s37, 0x3fcea1e5
	s_mov_b32 s36, s34
	v_add_f64 v[68:69], v[218:219], v[70:71]
	v_mul_f64 v[218:219], v[64:65], s[26:27]
	v_mul_f64 v[181:182], v[206:207], s[36:37]
	;; [unrolled: 1-line block ×3, first 2 shown]
	v_add_f64 v[70:71], v[222:223], v[191:192]
	v_fma_f64 v[222:223], v[98:99], s[20:21], -v[224:225]
	v_mul_f64 v[226:227], v[74:75], s[30:31]
	v_mul_f64 v[230:231], v[72:73], s[30:31]
	v_fma_f64 v[224:225], v[98:99], s[20:21], v[224:225]
	v_fma_f64 v[228:229], v[100:101], s[20:21], v[218:219]
	v_fma_f64 v[218:219], v[100:101], s[20:21], -v[218:219]
	s_mov_b32 s29, 0x3fea55e2
	s_mov_b32 s28, s18
	v_fma_f64 v[203:204], v[141:142], s[24:25], v[181:182]
	v_fma_f64 v[220:221], v[147:148], s[24:25], -v[195:196]
	v_mul_f64 v[191:192], v[214:215], s[28:29]
	v_fma_f64 v[232:233], v[110:111], s[10:11], -v[226:227]
	v_mul_f64 v[234:235], v[78:79], s[18:19]
	v_add_f64 v[228:229], v[14:15], v[228:229]
	v_fma_f64 v[236:237], v[112:113], s[10:11], v[230:231]
	v_mul_f64 v[238:239], v[76:77], s[18:19]
	v_add_f64 v[224:225], v[12:13], v[224:225]
	v_fma_f64 v[226:227], v[110:111], s[10:11], v[226:227]
	v_add_f64 v[218:219], v[14:15], v[218:219]
	v_fma_f64 v[230:231], v[112:113], s[10:11], -v[230:231]
	v_add_f64 v[68:69], v[203:204], v[68:69]
	v_add_f64 v[222:223], v[12:13], v[222:223]
	;; [unrolled: 1-line block ×3, first 2 shown]
	v_fma_f64 v[220:221], v[165:166], s[2:3], v[191:192]
	v_mul_f64 v[240:241], v[80:81], s[36:37]
	v_add_f64 v[228:229], v[236:237], v[228:229]
	v_fma_f64 v[236:237], v[122:123], s[2:3], v[238:239]
	v_mul_f64 v[244:245], v[82:83], s[36:37]
	v_add_f64 v[224:225], v[226:227], v[224:225]
	v_fma_f64 v[226:227], v[120:121], s[2:3], v[234:235]
	v_add_f64 v[218:219], v[230:231], v[218:219]
	v_fma_f64 v[230:231], v[122:123], s[2:3], -v[238:239]
	v_add_f64 v[222:223], v[232:233], v[222:223]
	v_fma_f64 v[232:233], v[120:121], s[2:3], -v[234:235]
	v_add_f64 v[228:229], v[236:237], v[228:229]
	v_fma_f64 v[236:237], v[145:146], s[24:25], v[244:245]
	v_mul_f64 v[246:247], v[206:207], s[8:9]
	v_mul_f64 v[248:249], v[212:213], s[8:9]
	v_add_f64 v[68:69], v[220:221], v[68:69]
	v_add_f64 v[220:221], v[226:227], v[224:225]
	v_fma_f64 v[224:225], v[128:129], s[24:25], v[240:241]
	v_add_f64 v[218:219], v[230:231], v[218:219]
	v_fma_f64 v[226:227], v[145:146], s[24:25], -v[244:245]
	v_mul_f64 v[66:67], v[66:67], s[34:35]
	v_mul_f64 v[64:65], v[64:65], s[34:35]
	v_add_f64 v[222:223], v[232:233], v[222:223]
	v_fma_f64 v[232:233], v[128:129], s[24:25], -v[240:241]
	v_add_f64 v[228:229], v[236:237], v[228:229]
	v_add_f64 v[220:221], v[224:225], v[220:221]
	v_fma_f64 v[224:225], v[141:142], s[6:7], v[246:247]
	v_add_f64 v[218:219], v[226:227], v[218:219]
	v_fma_f64 v[226:227], v[147:148], s[6:7], -v[248:249]
	v_fma_f64 v[236:237], v[98:99], s[24:25], -v[66:67]
	v_mul_f64 v[74:75], v[74:75], s[8:9]
	v_fma_f64 v[240:241], v[100:101], s[24:25], v[64:65]
	v_mul_f64 v[72:73], v[72:73], s[8:9]
	v_fma_f64 v[66:67], v[98:99], s[24:25], v[66:67]
	v_fma_f64 v[64:65], v[100:101], s[24:25], -v[64:65]
	v_add_f64 v[220:221], v[224:225], v[220:221]
	v_add_f64 v[218:219], v[226:227], v[218:219]
	v_add_f64 v[224:225], v[12:13], v[236:237]
	v_fma_f64 v[226:227], v[110:111], s[6:7], -v[74:75]
	v_add_f64 v[236:237], v[14:15], v[240:241]
	v_fma_f64 v[240:241], v[112:113], s[6:7], v[72:73]
	v_mul_f64 v[78:79], v[78:79], s[26:27]
	v_mul_f64 v[76:77], v[76:77], s[26:27]
	v_add_f64 v[66:67], v[12:13], v[66:67]
	v_fma_f64 v[74:75], v[110:111], s[6:7], v[74:75]
	v_add_f64 v[64:65], v[14:15], v[64:65]
	v_fma_f64 v[72:73], v[112:113], s[6:7], -v[72:73]
	v_add_f64 v[224:225], v[226:227], v[224:225]
	v_add_f64 v[226:227], v[240:241], v[236:237]
	v_fma_f64 v[236:237], v[120:121], s[20:21], -v[78:79]
	v_fma_f64 v[240:241], v[122:123], s[20:21], v[76:77]
	v_mul_f64 v[80:81], v[80:81], s[28:29]
	v_mul_f64 v[82:83], v[82:83], s[28:29]
	v_add_f64 v[66:67], v[74:75], v[66:67]
	v_add_f64 v[64:65], v[72:73], v[64:65]
	v_fma_f64 v[72:73], v[120:121], s[20:21], v[78:79]
	v_fma_f64 v[74:75], v[122:123], s[20:21], -v[76:77]
	v_add_f64 v[222:223], v[232:233], v[222:223]
	v_fma_f64 v[232:233], v[141:142], s[6:7], -v[246:247]
	v_add_f64 v[76:77], v[236:237], v[224:225]
	v_add_f64 v[78:79], v[240:241], v[226:227]
	v_fma_f64 v[224:225], v[128:129], s[2:3], -v[80:81]
	v_fma_f64 v[226:227], v[145:146], s[2:3], v[82:83]
	v_mul_f64 v[206:207], v[206:207], s[22:23]
	v_mul_f64 v[212:213], v[212:213], s[22:23]
	v_add_f64 v[66:67], v[72:73], v[66:67]
	v_add_f64 v[64:65], v[74:75], v[64:65]
	v_fma_f64 v[72:73], v[128:129], s[2:3], v[80:81]
	v_fma_f64 v[74:75], v[145:146], s[2:3], -v[82:83]
	v_mul_f64 v[203:204], v[216:217], s[28:29]
	v_fma_f64 v[234:235], v[147:148], s[6:7], v[248:249]
	v_add_f64 v[222:223], v[232:233], v[222:223]
	v_mul_f64 v[230:231], v[214:215], s[22:23]
	v_mul_f64 v[232:233], v[216:217], s[22:23]
	v_add_f64 v[76:77], v[224:225], v[76:77]
	v_add_f64 v[78:79], v[226:227], v[78:79]
	v_fma_f64 v[80:81], v[141:142], s[16:17], -v[206:207]
	v_fma_f64 v[82:83], v[147:148], s[16:17], v[212:213]
	v_mul_f64 v[214:215], v[214:215], s[30:31]
	v_mul_f64 v[216:217], v[216:217], s[30:31]
	v_add_f64 v[66:67], v[72:73], v[66:67]
	v_add_f64 v[64:65], v[74:75], v[64:65]
	v_fma_f64 v[72:73], v[141:142], s[16:17], v[206:207]
	v_fma_f64 v[74:75], v[147:148], s[16:17], -v[212:213]
	v_fma_f64 v[242:243], v[169:170], s[2:3], -v[203:204]
	v_add_f64 v[228:229], v[234:235], v[228:229]
	v_fma_f64 v[234:235], v[165:166], s[16:17], -v[230:231]
	v_fma_f64 v[238:239], v[169:170], s[16:17], v[232:233]
	v_fma_f64 v[206:207], v[165:166], s[16:17], v[230:231]
	v_fma_f64 v[212:213], v[169:170], s[16:17], -v[232:233]
	v_add_f64 v[76:77], v[80:81], v[76:77]
	v_add_f64 v[78:79], v[82:83], v[78:79]
	v_fma_f64 v[224:225], v[165:166], s[10:11], -v[214:215]
	v_fma_f64 v[226:227], v[169:170], s[10:11], v[216:217]
	v_add_f64 v[230:231], v[72:73], v[66:67]
	v_add_f64 v[232:233], v[74:75], v[64:65]
	v_fma_f64 v[214:215], v[165:166], s[10:11], v[214:215]
	v_fma_f64 v[216:217], v[169:170], s[10:11], -v[216:217]
	v_add_f64 v[70:71], v[242:243], v[70:71]
	v_add_f64 v[64:65], v[234:235], v[222:223]
	;; [unrolled: 1-line block ×9, first 2 shown]
	s_load_dwordx2 s[18:19], s[4:5], 0x20
	s_load_dwordx2 s[8:9], s[4:5], 0x8
	v_mul_lo_u16_e32 v214, 13, v209
	s_waitcnt lgkmcnt(0)
	s_barrier
	s_and_saveexec_b64 s[4:5], s[0:1]
	s_cbranch_execz .LBB0_7
; %bb.6:
	v_mul_f64 v[212:213], v[100:101], s[6:7]
	v_mul_f64 v[217:218], v[100:101], s[2:3]
	;; [unrolled: 1-line block ×11, first 2 shown]
	v_add_f64 v[100:101], v[199:200], v[100:101]
	v_mul_f64 v[98:99], v[98:99], s[16:17]
	v_mul_f64 v[243:244], v[122:123], s[6:7]
	;; [unrolled: 1-line block ×3, first 2 shown]
	v_add_f64 v[112:113], v[197:198], v[112:113]
	v_mul_f64 v[227:228], v[110:111], s[16:17]
	v_mul_f64 v[231:232], v[110:111], s[24:25]
	;; [unrolled: 1-line block ×3, first 2 shown]
	v_add_f64 v[100:101], v[14:15], v[100:101]
	v_mul_f64 v[245:246], v[145:146], s[10:11]
	v_add_f64 v[201:202], v[201:202], v[243:244]
	v_add_f64 v[98:99], v[98:99], -v[183:184]
	v_mul_f64 v[235:236], v[120:121], s[10:11]
	v_mul_f64 v[199:200], v[120:121], s[24:25]
	;; [unrolled: 1-line block ×4, first 2 shown]
	v_add_f64 v[100:101], v[112:113], v[100:101]
	v_add_f64 v[193:194], v[193:194], v[245:246]
	v_mul_f64 v[245:246], v[147:148], s[24:25]
	v_add_f64 v[110:111], v[110:111], -v[185:186]
	v_add_f64 v[98:99], v[12:13], v[98:99]
	v_mul_f64 v[197:198], v[128:129], s[16:17]
	v_mul_f64 v[243:244], v[128:129], s[20:21]
	;; [unrolled: 1-line block ×3, first 2 shown]
	v_add_f64 v[100:101], v[201:202], v[100:101]
	v_mul_f64 v[128:129], v[128:129], s[10:11]
	v_add_f64 v[195:196], v[195:196], v[245:246]
	v_mul_f64 v[245:246], v[169:170], s[2:3]
	v_add_f64 v[120:121], v[120:121], -v[187:188]
	v_add_f64 v[98:99], v[110:111], v[98:99]
	v_mul_f64 v[185:186], v[141:142], s[20:21]
	v_mul_f64 v[187:188], v[141:142], s[10:11]
	v_add_f64 v[100:101], v[193:194], v[100:101]
	v_mul_f64 v[193:194], v[141:142], s[2:3]
	v_mul_f64 v[141:142], v[141:142], s[24:25]
	v_add_f64 v[203:204], v[203:204], v[245:246]
	v_add_f64 v[128:129], v[128:129], -v[189:190]
	v_add_f64 v[98:99], v[120:121], v[98:99]
	v_add_f64 v[177:178], v[177:178], v[221:222]
	;; [unrolled: 1-line block ×5, first 2 shown]
	v_mul_f64 v[237:238], v[122:123], s[10:11]
	v_mul_f64 v[239:240], v[122:123], s[24:25]
	;; [unrolled: 1-line block ×3, first 2 shown]
	v_add_f64 v[141:142], v[141:142], -v[181:182]
	v_add_f64 v[128:129], v[128:129], v[98:99]
	v_add_f64 v[177:178], v[14:15], v[177:178]
	;; [unrolled: 1-line block ×7, first 2 shown]
	v_mul_f64 v[247:248], v[145:146], s[16:17]
	v_mul_f64 v[183:184], v[145:146], s[20:21]
	;; [unrolled: 1-line block ×3, first 2 shown]
	v_add_f64 v[128:129], v[141:142], v[128:129]
	v_add_f64 v[122:123], v[161:162], v[122:123]
	v_add_f64 v[141:142], v[219:220], -v[149:150]
	v_add_f64 v[100:101], v[100:101], v[177:178]
	v_add_f64 v[130:131], v[130:131], v[229:230]
	;; [unrolled: 1-line block ×5, first 2 shown]
	v_mul_f64 v[201:202], v[147:148], s[20:21]
	v_mul_f64 v[110:111], v[147:148], s[10:11]
	;; [unrolled: 1-line block ×3, first 2 shown]
	v_add_f64 v[20:21], v[163:164], v[145:146]
	v_add_f64 v[22:23], v[231:232], -v[153:154]
	v_add_f64 v[141:142], v[12:13], v[141:142]
	v_add_f64 v[100:101], v[122:123], v[100:101]
	v_add_f64 v[122:123], v[134:135], v[239:240]
	v_add_f64 v[130:131], v[130:131], v[149:150]
	v_add_f64 v[18:19], v[18:19], v[30:31]
	v_add_f64 v[16:17], v[16:17], v[28:29]
	v_add_f64 v[24:25], v[173:174], v[147:148]
	v_add_f64 v[26:27], v[241:242], -v[155:156]
	v_add_f64 v[22:23], v[22:23], v[141:142]
	v_add_f64 v[20:21], v[20:21], v[100:101]
	v_add_f64 v[100:101], v[137:138], v[183:184]
	v_add_f64 v[122:123], v[122:123], v[130:131]
	v_add_f64 v[18:19], v[18:19], v[34:35]
	v_add_f64 v[16:17], v[16:17], v[32:33]
	;; [unrolled: 8-line block ×3, first 2 shown]
	v_add_f64 v[36:37], v[215:216], -v[116:117]
	v_add_f64 v[14:15], v[14:15], v[86:87]
	v_add_f64 v[86:87], v[223:224], -v[88:89]
	v_add_f64 v[38:39], v[227:228], -v[118:119]
	v_mul_f64 v[195:196], v[169:170], s[6:7]
	v_add_f64 v[24:25], v[24:25], v[26:27]
	v_add_f64 v[26:27], v[206:207], -v[84:85]
	v_add_f64 v[18:19], v[18:19], v[42:43]
	v_add_f64 v[16:17], v[16:17], v[40:41]
	;; [unrolled: 1-line block ×4, first 2 shown]
	v_add_f64 v[42:43], v[235:236], -v[92:93]
	v_mul_f64 v[245:246], v[165:166], s[24:25]
	v_mul_f64 v[189:190], v[169:170], s[24:25]
	v_add_f64 v[26:27], v[12:13], v[26:27]
	v_add_f64 v[12:13], v[12:13], v[36:37]
	;; [unrolled: 1-line block ×5, first 2 shown]
	v_add_f64 v[36:37], v[199:200], -v[124:125]
	v_add_f64 v[44:45], v[104:105], v[247:248]
	v_mul_f64 v[169:170], v[169:170], s[20:21]
	v_add_f64 v[26:27], v[86:87], v[26:27]
	v_add_f64 v[12:13], v[38:39], v[12:13]
	;; [unrolled: 1-line block ×5, first 2 shown]
	v_add_f64 v[40:41], v[197:198], -v[96:97]
	v_add_f64 v[38:39], v[243:244], -v[126:127]
	v_mul_f64 v[120:121], v[165:166], s[6:7]
	v_add_f64 v[26:27], v[42:43], v[26:27]
	v_add_f64 v[12:13], v[36:37], v[12:13]
	v_add_f64 v[18:19], v[18:19], v[54:55]
	v_add_f64 v[16:17], v[16:17], v[52:53]
	v_add_f64 v[42:43], v[106:107], v[201:202]
	v_add_f64 v[14:15], v[44:45], v[14:15]
	v_add_f64 v[44:45], v[185:186], -v[102:103]
	v_add_f64 v[36:37], v[187:188], -v[132:133]
	v_add_f64 v[26:27], v[40:41], v[26:27]
	v_add_f64 v[12:13], v[38:39], v[12:13]
	v_mul_f64 v[221:222], v[165:166], s[2:3]
	v_mul_f64 v[165:166], v[165:166], s[20:21]
	v_add_f64 v[34:35], v[193:194], -v[167:168]
	v_add_f64 v[22:23], v[30:31], v[22:23]
	v_add_f64 v[30:31], v[157:158], v[195:196]
	;; [unrolled: 1-line block ×7, first 2 shown]
	v_add_f64 v[46:47], v[245:246], -v[108:109]
	v_add_f64 v[44:45], v[44:45], v[26:27]
	v_add_f64 v[38:39], v[120:121], -v[139:140]
	v_add_f64 v[12:13], v[36:37], v[12:13]
	;; [unrolled: 2-line block ×4, first 2 shown]
	v_add_f64 v[26:27], v[48:49], v[62:63]
	v_add_f64 v[24:25], v[16:17], v[60:61]
	;; [unrolled: 1-line block ×8, first 2 shown]
	v_add_lshl_u32 v28, v205, v214, 4
	ds_write_b128 v28, v[24:27]
	ds_write_b128 v28, v[20:23] offset:16
	ds_write_b128 v28, v[16:19] offset:32
	;; [unrolled: 1-line block ×12, first 2 shown]
.LBB0_7:
	s_or_b64 exec, exec, s[4:5]
	v_add_lshl_u32 v212, v205, v209, 4
	s_waitcnt lgkmcnt(0)
	s_barrier
	ds_read_b128 v[44:47], v212
	ds_read_b128 v[60:63], v212 offset:1872
	ds_read_b128 v[56:59], v212 offset:3744
	;; [unrolled: 1-line block ×4, first 2 shown]
	v_cmp_gt_u16_e64 s[2:3], 52, v209
	s_and_saveexec_b64 s[4:5], s[2:3]
	s_cbranch_execz .LBB0_9
; %bb.8:
	ds_read_b128 v[64:67], v212 offset:1040
	ds_read_b128 v[72:75], v212 offset:2912
	;; [unrolled: 1-line block ×5, first 2 shown]
.LBB0_9:
	s_or_b64 exec, exec, s[4:5]
	s_movk_i32 s4, 0x4f
	v_mul_lo_u16_sdwa v12, v209, s4 dst_sel:DWORD dst_unused:UNUSED_PAD src0_sel:BYTE_0 src1_sel:DWORD
	v_lshrrev_b16_e32 v139, 10, v12
	v_mul_lo_u16_e32 v12, 13, v139
	v_sub_u16_e32 v140, v209, v12
	v_mov_b32_e32 v12, 6
	v_lshlrev_b32_sdwa v13, v12, v140 dst_sel:DWORD dst_unused:UNUSED_PAD src0_sel:DWORD src1_sel:BYTE_0
	global_load_dwordx4 v[28:31], v13, s[8:9] offset:16
	global_load_dwordx4 v[40:43], v13, s[8:9]
	global_load_dwordx4 v[32:35], v13, s[8:9] offset:48
	global_load_dwordx4 v[36:39], v13, s[8:9] offset:32
	v_add_u16_e32 v13, 0x41, v209
	v_mul_lo_u16_sdwa v14, v13, s4 dst_sel:DWORD dst_unused:UNUSED_PAD src0_sel:BYTE_0 src1_sel:DWORD
	v_lshrrev_b16_e32 v215, 10, v14
	v_mul_lo_u16_e32 v14, 13, v215
	v_sub_u16_e32 v216, v13, v14
	v_lshlrev_b32_sdwa v84, v12, v216 dst_sel:DWORD dst_unused:UNUSED_PAD src0_sel:DWORD src1_sel:BYTE_0
	global_load_dwordx4 v[12:15], v84, s[8:9]
	global_load_dwordx4 v[24:27], v84, s[8:9] offset:16
	global_load_dwordx4 v[20:23], v84, s[8:9] offset:32
	;; [unrolled: 1-line block ×3, first 2 shown]
	s_mov_b32 s10, 0x134454ff
	s_mov_b32 s11, 0x3fee6f0e
	;; [unrolled: 1-line block ×8, first 2 shown]
	s_load_dwordx4 s[4:7], s[18:19], 0x0
	s_mov_b32 s18, 0x372fe950
	s_mov_b32 s19, 0x3fd3c6ef
	s_waitcnt vmcnt(0) lgkmcnt(0)
	s_barrier
	v_mul_f64 v[88:89], v[58:59], v[30:31]
	v_mul_f64 v[84:85], v[62:63], v[42:43]
	;; [unrolled: 1-line block ×16, first 2 shown]
	v_fma_f64 v[84:85], v[60:61], v[40:41], -v[84:85]
	v_fma_f64 v[86:87], v[62:63], v[40:41], v[86:87]
	v_fma_f64 v[88:89], v[56:57], v[28:29], -v[88:89]
	v_fma_f64 v[90:91], v[58:59], v[28:29], v[90:91]
	;; [unrolled: 2-line block ×8, first 2 shown]
	v_add_f64 v[76:77], v[44:45], v[84:85]
	v_add_f64 v[78:79], v[88:89], v[92:93]
	v_add_f64 v[80:81], v[84:85], -v[88:89]
	v_add_f64 v[104:105], v[84:85], v[96:97]
	v_add_f64 v[106:107], v[88:89], -v[84:85]
	v_add_f64 v[108:109], v[92:93], -v[96:97]
	v_add_f64 v[110:111], v[46:47], v[86:87]
	v_add_f64 v[112:113], v[90:91], v[94:95]
	v_add_f64 v[114:115], v[84:85], -v[96:97]
	v_add_f64 v[84:85], v[86:87], -v[90:91]
	;; [unrolled: 1-line block ×3, first 2 shown]
	v_add_f64 v[120:121], v[86:87], v[98:99]
	v_add_f64 v[124:125], v[56:57], v[52:53]
	;; [unrolled: 1-line block ×3, first 2 shown]
	v_add_f64 v[100:101], v[86:87], -v[98:99]
	v_add_f64 v[102:103], v[90:91], -v[94:95]
	;; [unrolled: 1-line block ×7, first 2 shown]
	v_add_f64 v[76:77], v[76:77], v[88:89]
	v_fma_f64 v[78:79], v[78:79], -0.5, v[44:45]
	v_fma_f64 v[88:89], v[104:105], -0.5, v[44:45]
	v_add_f64 v[104:105], v[106:107], v[108:109]
	v_add_f64 v[90:91], v[110:111], v[90:91]
	v_fma_f64 v[106:107], v[112:113], -0.5, v[46:47]
	v_add_f64 v[108:109], v[84:85], v[118:119]
	v_fma_f64 v[84:85], v[120:121], -0.5, v[46:47]
	v_fma_f64 v[44:45], v[124:125], -0.5, v[64:65]
	;; [unrolled: 1-line block ×3, first 2 shown]
	v_add_f64 v[82:83], v[96:97], -v[92:93]
	v_add_f64 v[70:71], v[58:59], -v[54:55]
	;; [unrolled: 1-line block ×7, first 2 shown]
	v_add_f64 v[110:111], v[86:87], v[122:123]
	v_add_f64 v[76:77], v[76:77], v[92:93]
	v_fma_f64 v[86:87], v[100:101], s[10:11], v[78:79]
	v_fma_f64 v[78:79], v[100:101], s[22:23], v[78:79]
	v_add_f64 v[90:91], v[90:91], v[94:95]
	v_fma_f64 v[94:95], v[114:115], s[22:23], v[106:107]
	v_fma_f64 v[106:107], v[114:115], s[10:11], v[106:107]
	;; [unrolled: 1-line block ×8, first 2 shown]
	v_add_f64 v[137:138], v[80:81], v[82:83]
	v_add_f64 v[82:83], v[126:127], v[128:129]
	;; [unrolled: 1-line block ×4, first 2 shown]
	v_fma_f64 v[76:77], v[102:103], s[16:17], v[86:87]
	v_fma_f64 v[78:79], v[102:103], s[20:21], v[78:79]
	v_add_f64 v[86:87], v[90:91], v[98:99]
	v_fma_f64 v[90:91], v[116:117], s[20:21], v[94:95]
	v_fma_f64 v[94:95], v[116:117], s[16:17], v[106:107]
	;; [unrolled: 1-line block ×18, first 2 shown]
	v_mul_u32_u24_e32 v104, 0x41, v139
	v_add_u32_sdwa v104, v104, v140 dst_sel:DWORD dst_unused:UNUSED_PAD src0_sel:DWORD src1_sel:BYTE_0
	v_add_lshl_u32 v217, v205, v104, 4
	ds_write_b128 v217, v[84:87]
	ds_write_b128 v217, v[88:91] offset:208
	ds_write_b128 v217, v[96:99] offset:416
	;; [unrolled: 1-line block ×4, first 2 shown]
	s_and_saveexec_b64 s[24:25], s[2:3]
	s_cbranch_execz .LBB0_11
; %bb.10:
	v_add_f64 v[84:85], v[62:63], v[50:51]
	v_add_f64 v[96:97], v[60:61], v[48:49]
	v_add_f64 v[94:95], v[58:59], -v[62:63]
	v_add_f64 v[62:63], v[66:67], v[62:63]
	v_mul_f64 v[86:87], v[68:69], s[10:11]
	v_mul_f64 v[90:91], v[72:73], s[10:11]
	;; [unrolled: 1-line block ×4, first 2 shown]
	v_fma_f64 v[84:85], v[84:85], -0.5, v[66:67]
	v_add_f64 v[66:67], v[56:57], -v[60:61]
	v_add_f64 v[60:61], v[64:65], v[60:61]
	v_fma_f64 v[64:65], v[96:97], -0.5, v[64:65]
	v_add_f64 v[58:59], v[62:63], v[58:59]
	v_add_f64 v[46:47], v[46:47], -v[90:91]
	v_add_f64 v[44:45], v[44:45], v[86:87]
	v_add_f64 v[98:99], v[54:55], -v[50:51]
	v_fma_f64 v[96:97], v[74:75], s[22:23], v[84:85]
	v_fma_f64 v[74:75], v[74:75], s[10:11], v[84:85]
	v_add_f64 v[56:57], v[60:61], v[56:57]
	v_add_f64 v[100:101], v[52:53], -v[48:49]
	v_fma_f64 v[60:61], v[70:71], s[22:23], v[64:65]
	v_fma_f64 v[64:65], v[70:71], s[10:11], v[64:65]
	v_add_f64 v[54:55], v[58:59], v[54:55]
	v_mul_f64 v[82:83], v[82:83], s[18:19]
	v_mul_f64 v[80:81], v[80:81], s[18:19]
	v_fma_f64 v[62:63], v[72:73], s[16:17], v[96:97]
	v_add_f64 v[58:59], v[56:57], v[52:53]
	v_fma_f64 v[70:71], v[72:73], s[20:21], v[74:75]
	v_add_f64 v[72:73], v[46:47], -v[92:93]
	v_add_f64 v[44:45], v[88:89], v[44:45]
	v_add_f64 v[94:95], v[94:95], v[98:99]
	v_add_f64 v[66:67], v[66:67], v[100:101]
	v_fma_f64 v[74:75], v[68:69], s[16:17], v[60:61]
	v_fma_f64 v[64:65], v[68:69], s[20:21], v[64:65]
	v_add_f64 v[60:61], v[54:55], v[50:51]
	v_add_f64 v[58:59], v[58:59], v[48:49]
	;; [unrolled: 1-line block ×4, first 2 shown]
	v_fma_f64 v[52:53], v[94:95], s[18:19], v[70:71]
	v_fma_f64 v[46:47], v[94:95], s[18:19], v[62:63]
	;; [unrolled: 1-line block ×4, first 2 shown]
	v_mul_u32_u24_e32 v48, 0x41, v215
	v_add_u32_sdwa v48, v48, v216 dst_sel:DWORD dst_unused:UNUSED_PAD src0_sel:DWORD src1_sel:BYTE_0
	v_add_lshl_u32 v48, v205, v48, 4
	ds_write_b128 v48, v[58:61]
	ds_write_b128 v48, v[54:57] offset:208
	ds_write_b128 v48, v[50:53] offset:416
	;; [unrolled: 1-line block ×4, first 2 shown]
.LBB0_11:
	s_or_b64 exec, exec, s[24:25]
	v_lshlrev_b32_e32 v80, 7, v209
	s_waitcnt lgkmcnt(0)
	s_barrier
	global_load_dwordx4 v[56:59], v80, s[8:9] offset:832
	global_load_dwordx4 v[52:55], v80, s[8:9] offset:848
	;; [unrolled: 1-line block ×8, first 2 shown]
	ds_read_b128 v[80:83], v212
	ds_read_b128 v[84:87], v212 offset:1040
	ds_read_b128 v[88:91], v212 offset:2080
	;; [unrolled: 1-line block ×8, first 2 shown]
	s_mov_b32 s26, 0xa2cf5039
	s_mov_b32 s17, 0x3fe491b7
	;; [unrolled: 1-line block ×16, first 2 shown]
	v_lshl_add_u32 v213, v209, 4, v211
	s_waitcnt vmcnt(7) lgkmcnt(7)
	v_mul_f64 v[116:117], v[86:87], v[58:59]
	v_mul_f64 v[118:119], v[84:85], v[58:59]
	s_waitcnt vmcnt(6) lgkmcnt(6)
	v_mul_f64 v[120:121], v[90:91], v[54:55]
	v_mul_f64 v[122:123], v[88:89], v[54:55]
	;; [unrolled: 3-line block ×3, first 2 shown]
	s_waitcnt vmcnt(4) lgkmcnt(4)
	v_mul_f64 v[128:129], v[98:99], v[46:47]
	s_waitcnt vmcnt(0) lgkmcnt(0)
	v_mul_f64 v[145:146], v[114:115], v[74:75]
	v_mul_f64 v[147:148], v[112:113], v[74:75]
	;; [unrolled: 1-line block ×7, first 2 shown]
	v_fma_f64 v[84:85], v[84:85], v[56:57], -v[116:117]
	v_fma_f64 v[86:87], v[86:87], v[56:57], v[118:119]
	v_fma_f64 v[112:113], v[112:113], v[72:73], -v[145:146]
	v_fma_f64 v[114:115], v[114:115], v[72:73], v[147:148]
	v_mul_f64 v[130:131], v[96:97], v[46:47]
	v_mul_f64 v[134:135], v[100:101], v[66:67]
	v_fma_f64 v[88:89], v[88:89], v[52:53], -v[120:121]
	v_fma_f64 v[90:91], v[90:91], v[52:53], v[122:123]
	v_fma_f64 v[92:93], v[92:93], v[48:49], -v[124:125]
	v_fma_f64 v[94:95], v[94:95], v[48:49], v[126:127]
	v_fma_f64 v[96:97], v[96:97], v[44:45], -v[128:129]
	v_fma_f64 v[108:109], v[108:109], v[68:69], -v[141:142]
	v_fma_f64 v[110:111], v[110:111], v[68:69], v[143:144]
	v_fma_f64 v[104:105], v[104:105], v[60:61], -v[137:138]
	v_fma_f64 v[106:107], v[106:107], v[60:61], v[139:140]
	v_fma_f64 v[100:101], v[100:101], v[64:65], -v[132:133]
	v_add_f64 v[116:117], v[84:85], v[112:113]
	v_add_f64 v[118:119], v[86:87], v[114:115]
	v_add_f64 v[112:113], v[84:85], -v[112:113]
	v_add_f64 v[114:115], v[86:87], -v[114:115]
	v_fma_f64 v[98:99], v[98:99], v[44:45], v[130:131]
	v_fma_f64 v[102:103], v[102:103], v[64:65], v[134:135]
	v_add_f64 v[120:121], v[88:89], v[108:109]
	v_add_f64 v[122:123], v[90:91], v[110:111]
	;; [unrolled: 1-line block ×4, first 2 shown]
	v_add_f64 v[84:85], v[88:89], -v[108:109]
	v_add_f64 v[86:87], v[90:91], -v[110:111]
	;; [unrolled: 1-line block ×5, first 2 shown]
	v_add_f64 v[94:95], v[96:97], v[100:101]
	v_mul_f64 v[108:109], v[112:113], s[16:17]
	v_mul_f64 v[110:111], v[114:115], s[16:17]
	v_fma_f64 v[128:129], v[116:117], s[26:27], v[80:81]
	s_mov_b32 s17, 0xbfe491b7
	v_add_f64 v[104:105], v[98:99], v[102:103]
	v_add_f64 v[106:107], v[98:99], -v[102:103]
	v_fma_f64 v[130:131], v[118:119], s[26:27], v[82:83]
	v_fma_f64 v[132:133], v[94:95], s[26:27], v[80:81]
	v_mul_f64 v[157:158], v[92:93], s[16:17]
	v_fma_f64 v[108:109], v[84:85], s[18:19], v[108:109]
	v_fma_f64 v[110:111], v[86:87], s[18:19], v[110:111]
	;; [unrolled: 1-line block ×4, first 2 shown]
	v_mul_f64 v[159:160], v[106:107], s[16:17]
	v_fma_f64 v[130:131], v[122:123], s[22:23], v[130:131]
	v_fma_f64 v[132:133], v[116:117], s[22:23], v[132:133]
	;; [unrolled: 1-line block ×5, first 2 shown]
	v_fma_f64 v[128:129], v[124:125], -0.5, v[128:129]
	v_add_f64 v[137:138], v[92:93], v[112:113]
	v_add_f64 v[139:140], v[106:107], v[114:115]
	;; [unrolled: 1-line block ×3, first 2 shown]
	v_mul_f64 v[149:150], v[92:93], s[18:19]
	v_mul_f64 v[151:152], v[106:107], s[18:19]
	v_fma_f64 v[153:154], v[120:121], s[26:27], v[80:81]
	v_fma_f64 v[155:156], v[122:123], s[26:27], v[82:83]
	;; [unrolled: 1-line block ×4, first 2 shown]
	v_fma_f64 v[130:131], v[126:127], -0.5, v[130:131]
	v_fma_f64 v[132:133], v[124:125], -0.5, v[132:133]
	v_fma_f64 v[157:158], v[88:89], s[24:25], v[157:158]
	v_fma_f64 v[108:109], v[92:93], s[10:11], v[108:109]
	;; [unrolled: 1-line block ×4, first 2 shown]
	v_add_f64 v[147:148], v[122:123], v[118:119]
	v_add_f64 v[137:138], v[137:138], -v[84:85]
	v_add_f64 v[161:162], v[94:95], v[145:146]
	v_fma_f64 v[149:150], v[84:85], s[16:17], -v[149:150]
	v_fma_f64 v[151:152], v[86:87], s[16:17], -v[151:152]
	v_fma_f64 v[134:135], v[126:127], -0.5, v[134:135]
	v_fma_f64 v[159:160], v[90:91], s[24:25], v[159:160]
	v_fma_f64 v[110:111], v[104:105], s[20:21], v[130:131]
	v_fma_f64 v[94:95], v[94:95], s[22:23], v[153:154]
	v_fma_f64 v[120:121], v[120:121], s[20:21], v[132:133]
	v_fma_f64 v[132:133], v[84:85], s[10:11], v[157:158]
	v_add_f64 v[84:85], v[92:93], v[106:107]
	v_fma_f64 v[106:107], v[104:105], s[22:23], v[155:156]
	v_add_f64 v[141:142], v[80:81], v[124:125]
	v_add_f64 v[143:144], v[82:83], v[126:127]
	v_add_f64 v[139:140], v[139:140], -v[86:87]
	v_add_f64 v[145:146], v[124:125], v[145:146]
	v_add_f64 v[128:129], v[126:127], v[147:148]
	v_fma_f64 v[122:123], v[122:123], s[20:21], v[134:135]
	v_fma_f64 v[130:131], v[86:87], s[10:11], v[159:160]
	v_add_f64 v[86:87], v[110:111], -v[108:109]
	v_fma_f64 v[110:111], v[88:89], s[8:9], v[149:150]
	v_fma_f64 v[134:135], v[90:91], s[8:9], v[151:152]
	v_fma_f64 v[124:125], v[124:125], -0.5, v[94:95]
	v_fma_f64 v[106:107], v[126:127], -0.5, v[106:107]
	v_add_f64 v[104:105], v[104:105], v[147:148]
	v_add_f64 v[96:97], v[96:97], v[145:146]
	;; [unrolled: 1-line block ×3, first 2 shown]
	v_fma_f64 v[94:95], v[108:109], 2.0, v[86:87]
	v_add_f64 v[98:99], v[98:99], v[128:129]
	v_fma_f64 v[108:109], v[161:162], -0.5, v[141:142]
	v_fma_f64 v[110:111], v[112:113], s[10:11], v[110:111]
	v_fma_f64 v[120:121], v[114:115], s[10:11], v[134:135]
	;; [unrolled: 1-line block ×4, first 2 shown]
	v_fma_f64 v[104:105], v[104:105], -0.5, v[143:144]
	v_add_f64 v[90:91], v[122:123], -v[132:133]
	v_add_f64 v[114:115], v[100:101], v[96:97]
	v_add_f64 v[116:117], v[102:103], v[98:99]
	v_mul_f64 v[118:119], v[137:138], s[8:9]
	v_mul_f64 v[122:123], v[139:140], s[8:9]
	v_fma_f64 v[96:97], v[139:140], s[8:9], v[108:109]
	v_add_f64 v[100:101], v[120:121], v[112:113]
	v_add_f64 v[102:103], v[106:107], -v[110:111]
	v_fma_f64 v[98:99], v[137:138], s[24:25], v[104:105]
	v_fma_f64 v[92:93], v[92:93], -2.0, v[84:85]
	v_add_f64 v[80:81], v[80:81], v[114:115]
	v_add_f64 v[82:83], v[82:83], v[116:117]
	v_fma_f64 v[112:113], v[130:131], -2.0, v[88:89]
	v_fma_f64 v[114:115], v[132:133], 2.0, v[90:91]
	v_fma_f64 v[104:105], v[122:123], -2.0, v[96:97]
	v_fma_f64 v[108:109], v[120:121], -2.0, v[100:101]
	v_fma_f64 v[110:111], v[110:111], 2.0, v[102:103]
	v_fma_f64 v[106:107], v[118:119], 2.0, v[98:99]
	ds_write_b128 v213, v[80:83]
	ds_write_b128 v213, v[84:87] offset:1040
	ds_write_b128 v213, v[88:91] offset:2080
	;; [unrolled: 1-line block ×8, first 2 shown]
	s_waitcnt lgkmcnt(0)
	s_barrier
	s_and_saveexec_b64 s[8:9], s[0:1]
	s_cbranch_execz .LBB0_13
; %bb.12:
	v_add_co_u32_e32 v116, vcc, s14, v210
	v_mov_b32_e32 v117, s15
	v_addc_co_u32_e32 v117, vcc, 0, v117, vcc
	v_add_co_u32_e32 v130, vcc, 0x2490, v116
	v_addc_co_u32_e32 v131, vcc, 0, v117, vcc
	v_add_co_u32_e32 v122, vcc, 0x2000, v116
	v_addc_co_u32_e32 v123, vcc, 0, v117, vcc
	global_load_dwordx4 v[122:125], v[122:123], off offset:1168
	ds_read_b128 v[118:121], v213
	s_movk_i32 s10, 0x3000
	s_waitcnt vmcnt(0) lgkmcnt(0)
	v_mul_f64 v[126:127], v[120:121], v[124:125]
	v_fma_f64 v[126:127], v[118:119], v[122:123], -v[126:127]
	v_mul_f64 v[118:119], v[118:119], v[124:125]
	v_fma_f64 v[128:129], v[120:121], v[122:123], v[118:119]
	global_load_dwordx4 v[122:125], v[130:131], off offset:720
	ds_read_b128 v[118:121], v213 offset:720
	ds_write_b128 v213, v[126:129]
	s_waitcnt vmcnt(0) lgkmcnt(1)
	v_mul_f64 v[126:127], v[120:121], v[124:125]
	v_fma_f64 v[126:127], v[118:119], v[122:123], -v[126:127]
	v_mul_f64 v[118:119], v[118:119], v[124:125]
	v_fma_f64 v[128:129], v[120:121], v[122:123], v[118:119]
	global_load_dwordx4 v[122:125], v[130:131], off offset:1440
	ds_read_b128 v[118:121], v213 offset:1440
	ds_write_b128 v213, v[126:129] offset:720
	s_waitcnt vmcnt(0) lgkmcnt(1)
	v_mul_f64 v[126:127], v[120:121], v[124:125]
	v_fma_f64 v[126:127], v[118:119], v[122:123], -v[126:127]
	v_mul_f64 v[118:119], v[118:119], v[124:125]
	v_fma_f64 v[128:129], v[120:121], v[122:123], v[118:119]
	global_load_dwordx4 v[122:125], v[130:131], off offset:2160
	ds_read_b128 v[118:121], v213 offset:2160
	ds_write_b128 v213, v[126:129] offset:1440
	;; [unrolled: 8-line block ×3, first 2 shown]
	s_waitcnt vmcnt(0) lgkmcnt(1)
	v_mul_f64 v[126:127], v[120:121], v[124:125]
	v_fma_f64 v[126:127], v[118:119], v[122:123], -v[126:127]
	v_mul_f64 v[118:119], v[118:119], v[124:125]
	v_fma_f64 v[128:129], v[120:121], v[122:123], v[118:119]
	global_load_dwordx4 v[122:125], v[130:131], off offset:3600
	ds_read_b128 v[118:121], v213 offset:3600
	v_add_co_u32_e32 v130, vcc, s10, v116
	v_addc_co_u32_e32 v131, vcc, 0, v117, vcc
	s_movk_i32 s10, 0x4000
	ds_write_b128 v213, v[126:129] offset:2880
	s_waitcnt vmcnt(0) lgkmcnt(1)
	v_mul_f64 v[126:127], v[120:121], v[124:125]
	v_fma_f64 v[126:127], v[118:119], v[122:123], -v[126:127]
	v_mul_f64 v[118:119], v[118:119], v[124:125]
	v_fma_f64 v[128:129], v[120:121], v[122:123], v[118:119]
	global_load_dwordx4 v[122:125], v[130:131], off offset:1392
	ds_read_b128 v[118:121], v213 offset:4320
	ds_write_b128 v213, v[126:129] offset:3600
	s_waitcnt vmcnt(0) lgkmcnt(1)
	v_mul_f64 v[126:127], v[120:121], v[124:125]
	v_fma_f64 v[126:127], v[118:119], v[122:123], -v[126:127]
	v_mul_f64 v[118:119], v[118:119], v[124:125]
	v_fma_f64 v[128:129], v[120:121], v[122:123], v[118:119]
	global_load_dwordx4 v[122:125], v[130:131], off offset:2112
	ds_read_b128 v[118:121], v213 offset:5040
	;; [unrolled: 8-line block ×4, first 2 shown]
	ds_write_b128 v213, v[126:129] offset:5760
	s_waitcnt vmcnt(0) lgkmcnt(1)
	v_mul_f64 v[126:127], v[120:121], v[124:125]
	v_fma_f64 v[126:127], v[118:119], v[122:123], -v[126:127]
	v_mul_f64 v[118:119], v[118:119], v[124:125]
	v_fma_f64 v[128:129], v[120:121], v[122:123], v[118:119]
	ds_read_b128 v[118:121], v213 offset:7200
	ds_write_b128 v213, v[126:129] offset:6480
	v_add_co_u32_e32 v128, vcc, s10, v116
	v_addc_co_u32_e32 v129, vcc, 0, v117, vcc
	global_load_dwordx4 v[122:125], v[128:129], off offset:176
	s_waitcnt vmcnt(0) lgkmcnt(1)
	v_mul_f64 v[116:117], v[120:121], v[124:125]
	v_fma_f64 v[116:117], v[118:119], v[122:123], -v[116:117]
	v_mul_f64 v[118:119], v[118:119], v[124:125]
	v_fma_f64 v[118:119], v[120:121], v[122:123], v[118:119]
	global_load_dwordx4 v[120:123], v[128:129], off offset:896
	ds_write_b128 v213, v[116:119] offset:7200
	ds_read_b128 v[116:119], v213 offset:7920
	s_waitcnt vmcnt(0) lgkmcnt(0)
	v_mul_f64 v[124:125], v[118:119], v[122:123]
	v_fma_f64 v[124:125], v[116:117], v[120:121], -v[124:125]
	v_mul_f64 v[116:117], v[116:117], v[122:123]
	v_fma_f64 v[126:127], v[118:119], v[120:121], v[116:117]
	global_load_dwordx4 v[120:123], v[128:129], off offset:1616
	ds_read_b128 v[116:119], v213 offset:8640
	ds_write_b128 v213, v[124:127] offset:7920
	s_waitcnt vmcnt(0) lgkmcnt(1)
	v_mul_f64 v[124:125], v[118:119], v[122:123]
	v_fma_f64 v[124:125], v[116:117], v[120:121], -v[124:125]
	v_mul_f64 v[116:117], v[116:117], v[122:123]
	v_fma_f64 v[126:127], v[118:119], v[120:121], v[116:117]
	ds_write_b128 v213, v[124:127] offset:8640
.LBB0_13:
	s_or_b64 exec, exec, s[8:9]
	s_waitcnt lgkmcnt(0)
	s_barrier
	s_and_saveexec_b64 s[8:9], s[0:1]
	s_cbranch_execz .LBB0_15
; %bb.14:
	ds_read_b128 v[80:83], v213
	ds_read_b128 v[84:87], v213 offset:720
	ds_read_b128 v[88:91], v213 offset:1440
	ds_read_b128 v[96:99], v213 offset:2160
	ds_read_b128 v[100:103], v213 offset:2880
	ds_read_b128 v[108:111], v213 offset:3600
	ds_read_b128 v[104:107], v213 offset:4320
	ds_read_b128 v[112:115], v213 offset:5040
	ds_read_b128 v[92:95], v213 offset:5760
	ds_read_b128 v[76:79], v213 offset:6480
	ds_read_b128 v[8:11], v213 offset:7200
	ds_read_b128 v[4:7], v213 offset:7920
	ds_read_b128 v[0:3], v213 offset:8640
.LBB0_15:
	s_or_b64 exec, exec, s[8:9]
	s_waitcnt lgkmcnt(0)
	v_add_f64 v[141:142], v[86:87], -v[2:3]
	v_add_f64 v[139:140], v[86:87], v[2:3]
	s_mov_b32 s8, 0xb2365da1
	s_mov_b32 s16, 0x2ef20147
	;; [unrolled: 1-line block ×8, first 2 shown]
	v_add_f64 v[137:138], v[84:85], v[0:1]
	v_add_f64 v[149:150], v[84:85], -v[0:1]
	v_mul_f64 v[185:186], v[141:142], s[16:17]
	v_mul_f64 v[187:188], v[139:140], s[8:9]
	;; [unrolled: 1-line block ×3, first 2 shown]
	v_add_f64 v[147:148], v[90:91], -v[6:7]
	v_add_f64 v[145:146], v[90:91], v[6:7]
	v_mul_f64 v[132:133], v[139:140], s[18:19]
	s_mov_b32 s10, 0xd0032e0c
	s_mov_b32 s22, 0x4bc48dbf
	;; [unrolled: 1-line block ×10, first 2 shown]
	v_mul_f64 v[118:119], v[139:140], s[10:11]
	v_fma_f64 v[120:121], v[137:138], s[8:9], -v[185:186]
	v_fma_f64 v[122:123], v[149:150], s[16:17], v[187:188]
	v_fma_f64 v[124:125], v[137:138], s[10:11], v[116:117]
	v_add_f64 v[143:144], v[88:89], v[4:5]
	v_add_f64 v[157:158], v[88:89], -v[4:5]
	v_mul_f64 v[189:190], v[147:148], s[38:39]
	v_mul_f64 v[191:192], v[145:146], s[10:11]
	;; [unrolled: 1-line block ×3, first 2 shown]
	v_fma_f64 v[151:152], v[149:150], s[46:47], v[132:133]
	s_mov_b32 s24, 0xebaa3ed8
	s_mov_b32 s25, 0x3fbedb7d
	v_fma_f64 v[126:127], v[149:150], s[38:39], v[118:119]
	v_add_f64 v[120:121], v[80:81], v[120:121]
	v_add_f64 v[122:123], v[82:83], v[122:123]
	;; [unrolled: 1-line block ×3, first 2 shown]
	v_mul_f64 v[128:129], v[141:142], s[22:23]
	v_fma_f64 v[153:154], v[143:144], s[10:11], -v[189:190]
	v_fma_f64 v[155:156], v[157:158], s[38:39], v[191:192]
	v_fma_f64 v[159:160], v[143:144], s[24:25], v[134:135]
	v_add_f64 v[161:162], v[82:83], v[151:152]
	v_mul_f64 v[151:152], v[145:146], s[24:25]
	s_mov_b32 s44, 0x4267c47c
	s_mov_b32 s28, 0xe00740e9
	;; [unrolled: 1-line block ×6, first 2 shown]
	v_fma_f64 v[116:117], v[137:138], s[10:11], -v[116:117]
	v_add_f64 v[126:127], v[82:83], v[126:127]
	v_fma_f64 v[118:119], v[149:150], s[20:21], v[118:119]
	v_fma_f64 v[130:131], v[137:138], s[18:19], v[128:129]
	v_add_f64 v[120:121], v[153:154], v[120:121]
	v_add_f64 v[122:123], v[155:156], v[122:123]
	;; [unrolled: 1-line block ×3, first 2 shown]
	v_mul_f64 v[159:160], v[147:148], s[44:45]
	v_mul_f64 v[163:164], v[145:146], s[28:29]
	v_fma_f64 v[153:154], v[157:158], s[26:27], v[151:152]
	v_add_f64 v[155:156], v[98:99], -v[10:11]
	s_mov_b32 s31, 0xbfddbe06
	s_mov_b32 s30, s44
	v_add_f64 v[116:117], v[80:81], v[116:117]
	v_fma_f64 v[128:129], v[137:138], s[18:19], -v[128:129]
	v_fma_f64 v[132:133], v[149:150], s[22:23], v[132:133]
	v_add_f64 v[118:119], v[82:83], v[118:119]
	v_add_f64 v[130:131], v[80:81], v[130:131]
	v_fma_f64 v[134:135], v[143:144], s[24:25], -v[134:135]
	v_fma_f64 v[165:166], v[157:158], s[42:43], v[151:152]
	v_fma_f64 v[167:168], v[143:144], s[28:29], v[159:160]
	;; [unrolled: 1-line block ×3, first 2 shown]
	v_add_f64 v[126:127], v[153:154], v[126:127]
	v_add_f64 v[151:152], v[96:97], v[8:9]
	;; [unrolled: 1-line block ×3, first 2 shown]
	v_mul_f64 v[193:194], v[155:156], s[44:45]
	s_mov_b32 s36, 0x42a4c3d2
	s_mov_b32 s34, 0x1ea71119
	s_mov_b32 s37, 0xbfea55e2
	s_mov_b32 s35, 0x3fe22d96
	v_add_f64 v[128:129], v[80:81], v[128:129]
	v_add_f64 v[132:133], v[82:83], v[132:133]
	;; [unrolled: 1-line block ×6, first 2 shown]
	v_fma_f64 v[159:160], v[143:144], s[28:29], -v[159:160]
	v_fma_f64 v[161:162], v[157:158], s[44:45], v[163:164]
	v_add_f64 v[163:164], v[96:97], -v[8:9]
	v_fma_f64 v[165:166], v[151:152], s[28:29], -v[193:194]
	v_mul_f64 v[167:168], v[155:156], s[36:37]
	v_mul_f64 v[169:170], v[153:154], s[34:35]
	s_mov_b32 s49, 0x3fea55e2
	s_mov_b32 s48, s36
	v_mul_f64 v[195:196], v[153:154], s[28:29]
	v_add_f64 v[128:129], v[159:160], v[128:129]
	v_add_f64 v[132:133], v[161:162], v[132:133]
	;; [unrolled: 1-line block ×3, first 2 shown]
	v_fma_f64 v[159:160], v[151:152], s[34:35], v[167:168]
	v_fma_f64 v[161:162], v[163:164], s[48:49], v[169:170]
	;; [unrolled: 1-line block ×3, first 2 shown]
	v_add_f64 v[165:166], v[102:103], -v[78:79]
	v_mul_f64 v[175:176], v[153:154], s[10:11]
	v_fma_f64 v[171:172], v[163:164], s[44:45], v[195:196]
	v_fma_f64 v[167:168], v[151:152], s[34:35], -v[167:168]
	v_mul_f64 v[173:174], v[155:156], s[20:21]
	v_add_f64 v[124:125], v[159:160], v[124:125]
	v_add_f64 v[126:127], v[161:162], v[126:127]
	;; [unrolled: 1-line block ×5, first 2 shown]
	v_fma_f64 v[169:170], v[163:164], s[38:39], v[175:176]
	v_mul_f64 v[177:178], v[165:166], s[46:47]
	v_add_f64 v[122:123], v[171:172], v[122:123]
	v_add_f64 v[116:117], v[167:168], v[116:117]
	v_fma_f64 v[167:168], v[151:152], s[10:11], v[173:174]
	v_mul_f64 v[197:198], v[165:166], s[26:27]
	v_add_f64 v[171:172], v[100:101], -v[76:77]
	v_mul_f64 v[199:200], v[161:162], s[24:25]
	v_fma_f64 v[173:174], v[151:152], s[10:11], -v[173:174]
	v_fma_f64 v[175:176], v[163:164], s[20:21], v[175:176]
	v_add_f64 v[134:135], v[169:170], v[134:135]
	v_fma_f64 v[169:170], v[159:160], s[18:19], v[177:178]
	v_mul_f64 v[179:180], v[161:162], s[18:19]
	v_fma_f64 v[181:182], v[159:160], s[24:25], -v[197:198]
	v_add_f64 v[130:131], v[167:168], v[130:131]
	v_fma_f64 v[167:168], v[171:172], s[26:27], v[199:200]
	v_add_f64 v[128:129], v[173:174], v[128:129]
	v_add_f64 v[132:133], v[175:176], v[132:133]
	v_fma_f64 v[175:176], v[159:160], s[18:19], -v[177:178]
	v_add_f64 v[124:125], v[169:170], v[124:125]
	v_add_f64 v[173:174], v[110:111], -v[94:95]
	v_add_f64 v[169:170], v[110:111], v[94:95]
	v_fma_f64 v[183:184], v[171:172], s[22:23], v[179:180]
	v_add_f64 v[120:121], v[181:182], v[120:121]
	v_fma_f64 v[177:178], v[171:172], s[46:47], v[179:180]
	v_add_f64 v[122:123], v[167:168], v[122:123]
	v_mul_f64 v[181:182], v[165:166], s[48:49]
	v_add_f64 v[116:117], v[175:176], v[116:117]
	v_mul_f64 v[175:176], v[161:162], s[34:35]
	v_add_f64 v[167:168], v[108:109], v[92:93]
	v_add_f64 v[179:180], v[108:109], -v[92:93]
	v_mul_f64 v[201:202], v[173:174], s[46:47]
	v_mul_f64 v[203:204], v[169:170], s[18:19]
	;; [unrolled: 1-line block ×3, first 2 shown]
	v_add_f64 v[126:127], v[183:184], v[126:127]
	v_add_f64 v[118:119], v[177:178], v[118:119]
	v_fma_f64 v[177:178], v[159:160], s[34:35], v[181:182]
	v_mul_f64 v[183:184], v[173:174], s[44:45]
	v_fma_f64 v[207:208], v[171:172], s[36:37], v[175:176]
	v_fma_f64 v[181:182], v[159:160], s[34:35], -v[181:182]
	v_fma_f64 v[175:176], v[171:172], s[48:49], v[175:176]
	v_fma_f64 v[218:219], v[167:168], s[18:19], -v[201:202]
	v_fma_f64 v[220:221], v[179:180], s[46:47], v[203:204]
	v_fma_f64 v[222:223], v[179:180], s[30:31], v[205:206]
	v_add_f64 v[130:131], v[177:178], v[130:131]
	v_fma_f64 v[177:178], v[167:168], s[28:29], v[183:184]
	v_fma_f64 v[224:225], v[179:180], s[44:45], v[205:206]
	v_add_f64 v[128:129], v[181:182], v[128:129]
	v_add_f64 v[132:133], v[175:176], v[132:133]
	;; [unrolled: 1-line block ×4, first 2 shown]
	v_mul_f64 v[218:219], v[173:174], s[16:17]
	v_add_f64 v[126:127], v[222:223], v[126:127]
	v_mul_f64 v[220:221], v[169:170], s[8:9]
	v_fma_f64 v[222:223], v[167:168], s[28:29], -v[183:184]
	v_add_f64 v[181:182], v[106:107], -v[114:115]
	v_add_f64 v[175:176], v[106:107], v[114:115]
	s_mov_b32 s51, 0x3fedeba7
	s_mov_b32 s50, s16
	v_add_f64 v[134:135], v[207:208], v[134:135]
	v_add_f64 v[124:125], v[177:178], v[124:125]
	v_fma_f64 v[226:227], v[167:168], s[8:9], v[218:219]
	v_fma_f64 v[228:229], v[179:180], s[50:51], v[220:221]
	v_add_f64 v[177:178], v[104:105], v[112:113]
	v_add_f64 v[183:184], v[104:105], -v[112:113]
	v_mul_f64 v[205:206], v[181:182], s[48:49]
	v_mul_f64 v[207:208], v[175:176], s[34:35]
	v_add_f64 v[222:223], v[222:223], v[116:117]
	v_add_f64 v[224:225], v[224:225], v[118:119]
	v_fma_f64 v[116:117], v[167:168], s[8:9], -v[218:219]
	v_fma_f64 v[118:119], v[179:180], s[16:17], v[220:221]
	v_add_f64 v[218:219], v[226:227], v[130:131]
	v_add_f64 v[220:221], v[228:229], v[134:135]
	v_fma_f64 v[130:131], v[177:178], s[34:35], -v[205:206]
	v_fma_f64 v[134:135], v[183:184], s[48:49], v[207:208]
	v_mul_f64 v[226:227], v[181:182], s[16:17]
	v_mul_f64 v[228:229], v[175:176], s[8:9]
	v_add_f64 v[230:231], v[116:117], v[128:129]
	v_add_f64 v[232:233], v[118:119], v[132:133]
	v_mul_f64 v[116:117], v[181:182], s[42:43]
	v_mul_f64 v[118:119], v[175:176], s[24:25]
	v_add_f64 v[128:129], v[130:131], v[120:121]
	v_add_f64 v[130:131], v[134:135], v[122:123]
	v_fma_f64 v[120:121], v[177:178], s[8:9], v[226:227]
	v_fma_f64 v[122:123], v[183:184], s[50:51], v[228:229]
	v_fma_f64 v[132:133], v[177:178], s[8:9], -v[226:227]
	v_fma_f64 v[134:135], v[183:184], s[16:17], v[228:229]
	v_fma_f64 v[226:227], v[177:178], s[24:25], v[116:117]
	v_fma_f64 v[228:229], v[183:184], s[26:27], v[118:119]
	v_fma_f64 v[234:235], v[177:178], s[24:25], -v[116:117]
	v_fma_f64 v[236:237], v[183:184], s[42:43], v[118:119]
	v_add_f64 v[116:117], v[120:121], v[124:125]
	v_add_f64 v[118:119], v[122:123], v[126:127]
	;; [unrolled: 1-line block ×8, first 2 shown]
	s_barrier
	s_and_saveexec_b64 s[40:41], s[0:1]
	s_cbranch_execz .LBB0_17
; %bb.16:
	v_mul_f64 v[218:219], v[149:150], s[16:17]
	v_mul_f64 v[220:221], v[137:138], s[8:9]
	;; [unrolled: 1-line block ×8, first 2 shown]
	v_add_f64 v[187:188], v[187:188], -v[218:219]
	v_add_f64 v[185:186], v[220:221], v[185:186]
	v_add_f64 v[191:192], v[191:192], -v[224:225]
	v_mul_f64 v[234:235], v[179:180], s[46:47]
	v_mul_f64 v[238:239], v[183:184], s[48:49]
	;; [unrolled: 1-line block ×3, first 2 shown]
	v_add_f64 v[195:196], v[195:196], -v[228:229]
	v_add_f64 v[189:190], v[222:223], v[189:190]
	v_add_f64 v[187:188], v[82:83], v[187:188]
	;; [unrolled: 1-line block ×4, first 2 shown]
	v_fma_f64 v[226:227], v[139:140], s[24:25], v[244:245]
	v_mul_f64 v[230:231], v[159:160], s[24:25]
	v_mul_f64 v[218:219], v[167:168], s[18:19]
	;; [unrolled: 1-line block ×4, first 2 shown]
	v_add_f64 v[187:188], v[191:192], v[187:188]
	v_mul_f64 v[191:192], v[141:142], s[26:27]
	v_mul_f64 v[228:229], v[147:148], s[22:23]
	v_add_f64 v[199:200], v[199:200], -v[232:233]
	v_add_f64 v[185:186], v[189:190], v[185:186]
	v_add_f64 v[189:190], v[207:208], -v[238:239]
	v_fma_f64 v[207:208], v[145:146], s[18:19], v[242:243]
	v_add_f64 v[226:227], v[82:83], v[226:227]
	v_add_f64 v[187:188], v[195:196], v[187:188]
	v_add_f64 v[195:196], v[203:204], -v[234:235]
	v_fma_f64 v[203:204], v[137:138], s[24:25], -v[191:192]
	v_mul_f64 v[220:221], v[171:172], s[44:45]
	v_mul_f64 v[222:223], v[155:156], s[50:51]
	v_add_f64 v[197:198], v[230:231], v[197:198]
	v_add_f64 v[185:186], v[193:194], v[185:186]
	;; [unrolled: 1-line block ×5, first 2 shown]
	v_fma_f64 v[201:202], v[143:144], s[18:19], -v[228:229]
	v_add_f64 v[203:204], v[80:81], v[203:204]
	v_fma_f64 v[205:206], v[153:154], s[8:9], v[224:225]
	v_add_f64 v[207:208], v[207:208], v[226:227]
	v_mul_f64 v[240:241], v[179:180], s[36:37]
	v_add_f64 v[185:186], v[197:198], v[185:186]
	v_add_f64 v[187:188], v[195:196], v[187:188]
	v_mul_f64 v[195:196], v[165:166], s[44:45]
	v_fma_f64 v[197:198], v[151:152], s[8:9], -v[222:223]
	v_fma_f64 v[218:219], v[139:140], s[24:25], -v[244:245]
	v_add_f64 v[201:202], v[201:202], v[203:204]
	v_fma_f64 v[203:204], v[161:162], s[28:29], v[220:221]
	v_add_f64 v[205:206], v[205:206], v[207:208]
	v_add_f64 v[86:87], v[82:83], v[86:87]
	;; [unrolled: 1-line block ×3, first 2 shown]
	v_mul_f64 v[207:208], v[183:184], s[20:21]
	v_mul_f64 v[226:227], v[173:174], s[36:37]
	v_fma_f64 v[230:231], v[159:160], s[28:29], -v[195:196]
	v_fma_f64 v[232:233], v[145:146], s[18:19], -v[242:243]
	v_add_f64 v[218:219], v[82:83], v[218:219]
	v_add_f64 v[197:198], v[197:198], v[201:202]
	v_fma_f64 v[201:202], v[169:170], s[34:35], v[240:241]
	v_add_f64 v[203:204], v[203:204], v[205:206]
	v_add_f64 v[86:87], v[86:87], v[90:91]
	;; [unrolled: 1-line block ×4, first 2 shown]
	v_mul_f64 v[199:200], v[181:182], s[20:21]
	v_fma_f64 v[205:206], v[167:168], s[34:35], -v[226:227]
	v_fma_f64 v[224:225], v[153:154], s[8:9], -v[224:225]
	v_add_f64 v[218:219], v[232:233], v[218:219]
	v_add_f64 v[197:198], v[230:231], v[197:198]
	v_fma_f64 v[230:231], v[175:176], s[10:11], v[207:208]
	v_add_f64 v[201:202], v[201:202], v[203:204]
	v_add_f64 v[86:87], v[86:87], v[98:99]
	;; [unrolled: 1-line block ×4, first 2 shown]
	v_fma_f64 v[189:190], v[177:178], s[10:11], -v[199:200]
	v_fma_f64 v[203:204], v[161:162], s[28:29], -v[220:221]
	v_fma_f64 v[220:221], v[137:138], s[24:25], v[191:192]
	v_add_f64 v[218:219], v[224:225], v[218:219]
	v_add_f64 v[197:198], v[205:206], v[197:198]
	;; [unrolled: 1-line block ×3, first 2 shown]
	v_mul_f64 v[201:202], v[149:150], s[36:37]
	v_add_f64 v[86:87], v[86:87], v[102:103]
	v_add_f64 v[100:101], v[84:85], v[100:101]
	;; [unrolled: 1-line block ×3, first 2 shown]
	v_fma_f64 v[193:194], v[169:170], s[34:35], -v[240:241]
	v_fma_f64 v[205:206], v[143:144], s[18:19], v[228:229]
	v_add_f64 v[220:221], v[80:81], v[220:221]
	v_add_f64 v[203:204], v[203:204], v[218:219]
	;; [unrolled: 1-line block ×3, first 2 shown]
	v_mul_f64 v[197:198], v[141:142], s[36:37]
	v_mul_f64 v[218:219], v[157:158], s[16:17]
	v_fma_f64 v[224:225], v[139:140], s[34:35], v[201:202]
	v_fma_f64 v[201:202], v[139:140], s[34:35], -v[201:202]
	v_add_f64 v[86:87], v[86:87], v[110:111]
	v_add_f64 v[100:101], v[100:101], v[108:109]
	v_fma_f64 v[222:223], v[151:152], s[8:9], v[222:223]
	v_add_f64 v[205:206], v[205:206], v[220:221]
	v_add_f64 v[193:194], v[193:194], v[203:204]
	v_mul_f64 v[203:204], v[147:148], s[16:17]
	v_fma_f64 v[220:221], v[137:138], s[34:35], -v[197:198]
	v_mul_f64 v[228:229], v[163:164], s[22:23]
	v_fma_f64 v[230:231], v[145:146], s[8:9], v[218:219]
	v_mul_f64 v[234:235], v[171:172], s[38:39]
	v_fma_f64 v[218:219], v[145:146], s[8:9], -v[218:219]
	v_add_f64 v[201:202], v[82:83], v[201:202]
	v_fma_f64 v[197:198], v[137:138], s[34:35], v[197:198]
	v_mul_f64 v[149:150], v[149:150], s[30:31]
	v_mul_f64 v[108:109], v[141:142], s[30:31]
	v_add_f64 v[86:87], v[86:87], v[106:107]
	v_add_f64 v[100:101], v[100:101], v[104:105]
	;; [unrolled: 1-line block ×3, first 2 shown]
	v_fma_f64 v[195:196], v[159:160], s[28:29], v[195:196]
	v_add_f64 v[205:206], v[222:223], v[205:206]
	v_mul_f64 v[222:223], v[155:156], s[22:23]
	v_fma_f64 v[232:233], v[143:144], s[8:9], -v[203:204]
	v_fma_f64 v[236:237], v[153:154], s[18:19], v[228:229]
	v_fma_f64 v[238:239], v[161:162], s[10:11], v[234:235]
	v_fma_f64 v[228:229], v[153:154], s[18:19], -v[228:229]
	v_add_f64 v[201:202], v[218:219], v[201:202]
	v_fma_f64 v[203:204], v[143:144], s[8:9], v[203:204]
	v_add_f64 v[197:198], v[80:81], v[197:198]
	v_fma_f64 v[218:219], v[161:162], s[10:11], -v[234:235]
	v_mul_f64 v[157:158], v[157:158], s[36:37]
	v_fma_f64 v[234:235], v[139:140], s[28:29], v[149:150]
	v_fma_f64 v[139:140], v[139:140], s[28:29], -v[149:150]
	v_mul_f64 v[147:148], v[147:148], s[36:37]
	v_fma_f64 v[104:105], v[137:138], s[28:29], v[108:109]
	v_fma_f64 v[108:109], v[137:138], s[28:29], -v[108:109]
	v_add_f64 v[86:87], v[86:87], v[114:115]
	v_add_f64 v[100:101], v[100:101], v[112:113]
	;; [unrolled: 1-line block ×4, first 2 shown]
	v_mul_f64 v[205:206], v[165:166], s[38:39]
	v_fma_f64 v[230:231], v[151:152], s[18:19], -v[222:223]
	v_add_f64 v[201:202], v[228:229], v[201:202]
	v_fma_f64 v[222:223], v[151:152], s[18:19], v[222:223]
	v_add_f64 v[197:198], v[203:204], v[197:198]
	v_mul_f64 v[163:164], v[163:164], s[26:27]
	v_add_f64 v[228:229], v[82:83], v[234:235]
	v_mul_f64 v[106:107], v[155:156], s[26:27]
	v_fma_f64 v[137:138], v[145:146], s[34:35], -v[157:158]
	v_add_f64 v[82:83], v[82:83], v[139:140]
	v_fma_f64 v[139:140], v[143:144], s[34:35], v[147:148]
	v_add_f64 v[104:105], v[80:81], v[104:105]
	v_add_f64 v[220:221], v[80:81], v[220:221]
	v_fma_f64 v[203:204], v[145:146], s[34:35], v[157:158]
	v_fma_f64 v[112:113], v[143:144], s[34:35], -v[147:148]
	v_add_f64 v[80:81], v[80:81], v[108:109]
	v_add_f64 v[86:87], v[86:87], v[94:95]
	;; [unrolled: 1-line block ×4, first 2 shown]
	v_mul_f64 v[236:237], v[173:174], s[42:43]
	v_fma_f64 v[90:91], v[159:160], s[10:11], v[205:206]
	v_add_f64 v[197:198], v[222:223], v[197:198]
	v_mul_f64 v[171:172], v[171:172], s[16:17]
	v_mul_f64 v[165:166], v[165:166], s[16:17]
	v_fma_f64 v[108:109], v[153:154], s[24:25], -v[163:164]
	v_add_f64 v[82:83], v[137:138], v[82:83]
	v_fma_f64 v[114:115], v[151:152], s[24:25], v[106:107]
	v_add_f64 v[94:95], v[139:140], v[104:105]
	v_fma_f64 v[226:227], v[167:168], s[34:35], v[226:227]
	v_add_f64 v[220:221], v[232:233], v[220:221]
	v_mul_f64 v[232:233], v[179:180], s[42:43]
	v_add_f64 v[88:89], v[218:219], v[201:202]
	v_fma_f64 v[201:202], v[153:154], s[24:25], v[163:164]
	v_add_f64 v[203:204], v[203:204], v[228:229]
	v_fma_f64 v[100:101], v[151:152], s[24:25], -v[106:107]
	v_add_f64 v[80:81], v[112:113], v[80:81]
	v_add_f64 v[78:79], v[86:87], v[78:79]
	;; [unrolled: 1-line block ×3, first 2 shown]
	v_fma_f64 v[96:97], v[167:168], s[24:25], v[236:237]
	v_add_f64 v[90:91], v[90:91], v[197:198]
	v_mul_f64 v[98:99], v[179:180], s[20:21]
	v_mul_f64 v[141:142], v[173:174], s[20:21]
	v_fma_f64 v[104:105], v[161:162], s[8:9], -v[171:172]
	v_add_f64 v[82:83], v[108:109], v[82:83]
	v_fma_f64 v[106:107], v[159:160], s[8:9], v[165:166]
	v_add_f64 v[86:87], v[114:115], v[94:95]
	v_fma_f64 v[207:208], v[175:176], s[10:11], -v[207:208]
	v_fma_f64 v[199:200], v[177:178], s[10:11], v[199:200]
	v_add_f64 v[226:227], v[226:227], v[195:196]
	v_add_f64 v[220:221], v[230:231], v[220:221]
	v_mul_f64 v[230:231], v[183:184], s[44:45]
	v_fma_f64 v[242:243], v[169:170], s[24:25], v[232:233]
	v_fma_f64 v[232:233], v[169:170], s[24:25], -v[232:233]
	v_fma_f64 v[240:241], v[159:160], s[10:11], -v[205:206]
	v_fma_f64 v[179:180], v[161:162], s[8:9], v[171:172]
	v_add_f64 v[197:198], v[201:202], v[203:204]
	v_fma_f64 v[92:93], v[159:160], s[8:9], -v[165:166]
	v_add_f64 v[80:81], v[100:101], v[80:81]
	v_add_f64 v[10:11], v[78:79], v[10:11]
	;; [unrolled: 1-line block ×4, first 2 shown]
	v_mul_f64 v[96:97], v[183:184], s[22:23]
	v_fma_f64 v[102:103], v[169:170], s[10:11], v[98:99]
	v_mul_f64 v[110:111], v[181:182], s[22:23]
	v_fma_f64 v[94:95], v[169:170], s[10:11], -v[98:99]
	v_add_f64 v[82:83], v[104:105], v[82:83]
	v_fma_f64 v[98:99], v[167:168], s[10:11], v[141:142]
	v_add_f64 v[76:77], v[106:107], v[86:87]
	v_add_f64 v[195:196], v[207:208], v[193:194]
	v_mul_f64 v[207:208], v[181:182], s[44:45]
	v_add_f64 v[193:194], v[199:200], v[226:227]
	v_fma_f64 v[199:200], v[175:176], s[28:29], v[230:231]
	v_fma_f64 v[230:231], v[175:176], s[28:29], -v[230:231]
	v_add_f64 v[88:89], v[232:233], v[88:89]
	v_add_f64 v[224:225], v[238:239], v[224:225]
	v_fma_f64 v[238:239], v[167:168], s[24:25], -v[236:237]
	v_add_f64 v[220:221], v[240:241], v[220:221]
	v_add_f64 v[179:180], v[179:180], v[197:198]
	;; [unrolled: 3-line block ×3, first 2 shown]
	v_add_f64 v[10:11], v[8:9], v[4:5]
	v_fma_f64 v[86:87], v[175:176], s[18:19], -v[96:97]
	v_add_f64 v[82:83], v[94:95], v[82:83]
	v_fma_f64 v[92:93], v[177:178], s[18:19], v[110:111]
	v_add_f64 v[76:77], v[98:99], v[76:77]
	v_add_f64 v[84:85], v[230:231], v[88:89]
	v_fma_f64 v[88:89], v[177:178], s[28:29], v[207:208]
	v_add_f64 v[224:225], v[242:243], v[224:225]
	v_fma_f64 v[226:227], v[177:178], s[28:29], -v[207:208]
	v_add_f64 v[220:221], v[238:239], v[220:221]
	v_fma_f64 v[94:95], v[175:176], s[18:19], v[96:97]
	v_add_f64 v[96:97], v[102:103], v[179:180]
	v_fma_f64 v[98:99], v[177:178], s[18:19], -v[110:111]
	v_add_f64 v[80:81], v[78:79], v[80:81]
	v_add_f64 v[8:9], v[6:7], v[2:3]
	;; [unrolled: 1-line block ×6, first 2 shown]
	v_lshl_add_u32 v0, v214, 4, v211
	v_add_f64 v[78:79], v[199:200], v[224:225]
	v_add_f64 v[76:77], v[226:227], v[220:221]
	;; [unrolled: 1-line block ×4, first 2 shown]
	ds_write_b128 v0, v[6:9]
	ds_write_b128 v0, v[2:5] offset:16
	ds_write_b128 v0, v[82:85] offset:32
	;; [unrolled: 1-line block ×12, first 2 shown]
.LBB0_17:
	s_or_b64 exec, exec, s[40:41]
	s_waitcnt lgkmcnt(0)
	s_barrier
	ds_read_b128 v[0:3], v212
	ds_read_b128 v[80:83], v212 offset:1872
	ds_read_b128 v[4:7], v212 offset:3744
	;; [unrolled: 1-line block ×4, first 2 shown]
	s_and_saveexec_b64 s[8:9], s[2:3]
	s_cbranch_execz .LBB0_19
; %bb.18:
	ds_read_b128 v[116:119], v212 offset:1040
	ds_read_b128 v[120:123], v212 offset:2912
	;; [unrolled: 1-line block ×5, first 2 shown]
.LBB0_19:
	s_or_b64 exec, exec, s[8:9]
	s_waitcnt lgkmcnt(2)
	v_mul_f64 v[84:85], v[30:31], v[6:7]
	s_waitcnt lgkmcnt(1)
	v_mul_f64 v[86:87], v[38:39], v[10:11]
	v_mul_f64 v[88:89], v[42:43], v[82:83]
	;; [unrolled: 1-line block ×4, first 2 shown]
	s_waitcnt lgkmcnt(0)
	v_mul_f64 v[90:91], v[34:35], v[76:77]
	s_mov_b32 s8, 0x134454ff
	s_mov_b32 s9, 0xbfee6f0e
	v_fma_f64 v[84:85], v[28:29], v[4:5], v[84:85]
	v_fma_f64 v[86:87], v[36:37], v[8:9], v[86:87]
	v_mul_f64 v[4:5], v[38:39], v[8:9]
	v_mul_f64 v[8:9], v[34:35], v[78:79]
	v_fma_f64 v[34:35], v[40:41], v[80:81], v[88:89]
	v_fma_f64 v[38:39], v[40:41], v[82:83], -v[42:43]
	v_fma_f64 v[40:41], v[32:33], v[78:79], -v[90:91]
	;; [unrolled: 1-line block ×3, first 2 shown]
	s_mov_b32 s10, 0x4755a5e
	v_add_f64 v[42:43], v[84:85], v[86:87]
	v_fma_f64 v[10:11], v[36:37], v[10:11], -v[4:5]
	v_fma_f64 v[8:9], v[32:33], v[76:77], v[8:9]
	v_add_f64 v[4:5], v[0:1], v[34:35]
	v_add_f64 v[36:37], v[34:35], -v[84:85]
	v_add_f64 v[28:29], v[38:39], -v[40:41]
	v_add_f64 v[88:89], v[38:39], v[40:41]
	s_mov_b32 s19, 0x3fee6f0e
	v_fma_f64 v[30:31], v[42:43], -0.5, v[0:1]
	v_add_f64 v[32:33], v[6:7], -v[10:11]
	v_add_f64 v[42:43], v[8:9], -v[86:87]
	v_add_f64 v[76:77], v[34:35], v[8:9]
	v_add_f64 v[4:5], v[4:5], v[84:85]
	s_mov_b32 s18, s8
	s_mov_b32 s11, 0xbfe2cf23
	v_add_f64 v[82:83], v[2:3], v[38:39]
	v_fma_f64 v[78:79], v[28:29], s[8:9], v[30:31]
	v_fma_f64 v[30:31], v[28:29], s[18:19], v[30:31]
	v_add_f64 v[36:37], v[36:37], v[42:43]
	v_fma_f64 v[42:43], v[76:77], -0.5, v[0:1]
	v_add_f64 v[0:1], v[4:5], v[86:87]
	v_add_f64 v[76:77], v[6:7], v[10:11]
	v_add_f64 v[80:81], v[84:85], -v[34:35]
	s_mov_b32 s21, 0x3fe2cf23
	v_fma_f64 v[4:5], v[32:33], s[10:11], v[78:79]
	v_add_f64 v[78:79], v[86:87], -v[8:9]
	s_mov_b32 s20, s10
	v_fma_f64 v[90:91], v[32:33], s[18:19], v[42:43]
	v_add_f64 v[0:1], v[0:1], v[8:9]
	v_fma_f64 v[76:77], v[76:77], -0.5, v[2:3]
	v_add_f64 v[8:9], v[34:35], -v[8:9]
	v_add_f64 v[34:35], v[84:85], -v[86:87]
	v_fma_f64 v[2:3], v[88:89], -0.5, v[2:3]
	v_fma_f64 v[30:31], v[32:33], s[20:21], v[30:31]
	v_fma_f64 v[32:33], v[32:33], s[8:9], v[42:43]
	v_add_f64 v[42:43], v[82:83], v[6:7]
	v_add_f64 v[78:79], v[80:81], v[78:79]
	v_add_f64 v[82:83], v[38:39], -v[6:7]
	v_fma_f64 v[80:81], v[8:9], s[18:19], v[76:77]
	v_add_f64 v[86:87], v[40:41], -v[10:11]
	v_fma_f64 v[88:89], v[34:35], s[8:9], v[2:3]
	v_add_f64 v[6:7], v[6:7], -v[38:39]
	v_add_f64 v[38:39], v[10:11], -v[40:41]
	v_fma_f64 v[2:3], v[34:35], s[18:19], v[2:3]
	v_fma_f64 v[76:77], v[8:9], s[8:9], v[76:77]
	v_add_f64 v[10:11], v[42:43], v[10:11]
	v_fma_f64 v[42:43], v[34:35], s[20:21], v[80:81]
	v_add_f64 v[80:81], v[82:83], v[86:87]
	v_fma_f64 v[84:85], v[28:29], s[10:11], v[90:91]
	v_fma_f64 v[82:83], v[8:9], s[20:21], v[88:89]
	v_add_f64 v[38:39], v[6:7], v[38:39]
	v_fma_f64 v[32:33], v[28:29], s[20:21], v[32:33]
	v_fma_f64 v[86:87], v[8:9], s[10:11], v[2:3]
	;; [unrolled: 1-line block ×3, first 2 shown]
	s_mov_b32 s16, 0x372fe950
	s_mov_b32 s17, 0x3fd3c6ef
	v_add_f64 v[2:3], v[10:11], v[40:41]
	v_fma_f64 v[4:5], v[36:37], s[16:17], v[4:5]
	v_fma_f64 v[6:7], v[80:81], s[16:17], v[42:43]
	;; [unrolled: 1-line block ×8, first 2 shown]
	s_barrier
	ds_write_b128 v217, v[0:3]
	ds_write_b128 v217, v[4:7] offset:208
	ds_write_b128 v217, v[28:31] offset:416
	ds_write_b128 v217, v[32:35] offset:624
	ds_write_b128 v217, v[8:11] offset:832
	s_and_saveexec_b64 s[22:23], s[2:3]
	s_cbranch_execz .LBB0_21
; %bb.20:
	v_mul_f64 v[2:3], v[14:15], v[120:121]
	v_mul_f64 v[4:5], v[18:19], v[128:129]
	;; [unrolled: 1-line block ×8, first 2 shown]
	v_fma_f64 v[2:3], v[12:13], v[122:123], -v[2:3]
	v_fma_f64 v[4:5], v[16:17], v[130:131], -v[4:5]
	;; [unrolled: 1-line block ×4, first 2 shown]
	v_fma_f64 v[8:9], v[24:25], v[124:125], v[8:9]
	v_fma_f64 v[10:11], v[20:21], v[132:133], v[10:11]
	;; [unrolled: 1-line block ×4, first 2 shown]
	v_add_f64 v[32:33], v[118:119], v[2:3]
	v_add_f64 v[6:7], v[2:3], v[4:5]
	v_add_f64 v[14:15], v[0:1], -v[2:3]
	v_add_f64 v[26:27], v[0:1], v[22:23]
	v_add_f64 v[18:19], v[22:23], -v[4:5]
	v_add_f64 v[20:21], v[8:9], -v[10:11]
	;; [unrolled: 1-line block ×5, first 2 shown]
	v_fma_f64 v[6:7], v[6:7], -0.5, v[118:119]
	v_add_f64 v[38:39], v[2:3], -v[4:5]
	v_fma_f64 v[2:3], v[26:27], -0.5, v[118:119]
	v_add_f64 v[76:77], v[8:9], v[10:11]
	v_add_f64 v[26:27], v[12:13], v[16:17]
	;; [unrolled: 1-line block ×4, first 2 shown]
	v_add_f64 v[42:43], v[0:1], -v[22:23]
	v_fma_f64 v[40:41], v[20:21], s[18:19], v[6:7]
	v_fma_f64 v[6:7], v[20:21], s[8:9], v[6:7]
	;; [unrolled: 1-line block ×4, first 2 shown]
	v_fma_f64 v[26:27], v[26:27], -0.5, v[116:117]
	v_add_f64 v[34:35], v[8:9], -v[12:13]
	v_add_f64 v[0:1], v[32:33], v[0:1]
	v_add_f64 v[12:13], v[12:13], -v[8:9]
	v_fma_f64 v[40:41], v[24:25], s[10:11], v[40:41]
	v_fma_f64 v[6:7], v[24:25], s[20:21], v[6:7]
	v_add_f64 v[24:25], v[28:29], v[30:31]
	v_fma_f64 v[28:29], v[76:77], -0.5, v[116:117]
	v_add_f64 v[8:9], v[78:79], v[8:9]
	v_add_f64 v[36:37], v[10:11], -v[16:17]
	v_fma_f64 v[18:19], v[20:21], s[10:11], v[18:19]
	v_fma_f64 v[20:21], v[20:21], s[20:21], v[2:3]
	;; [unrolled: 1-line block ×4, first 2 shown]
	v_add_f64 v[14:15], v[16:17], -v[10:11]
	v_fma_f64 v[30:31], v[38:39], s[8:9], v[28:29]
	v_fma_f64 v[32:33], v[42:43], s[18:19], v[26:27]
	;; [unrolled: 1-line block ×4, first 2 shown]
	v_add_f64 v[0:1], v[0:1], v[22:23]
	v_add_f64 v[8:9], v[8:9], v[10:11]
	;; [unrolled: 1-line block ×4, first 2 shown]
	v_fma_f64 v[12:13], v[42:43], s[10:11], v[30:31]
	v_fma_f64 v[30:31], v[38:39], s[10:11], v[32:33]
	;; [unrolled: 1-line block ×5, first 2 shown]
	v_add_f64 v[18:19], v[0:1], v[4:5]
	v_add_f64 v[16:17], v[8:9], v[16:17]
	v_fma_f64 v[14:15], v[24:25], s[16:17], v[20:21]
	v_fma_f64 v[12:13], v[34:35], s[16:17], v[12:13]
	;; [unrolled: 1-line block ×5, first 2 shown]
	v_mul_u32_u24_e32 v20, 0x41, v215
	v_add_u32_sdwa v20, v20, v216 dst_sel:DWORD dst_unused:UNUSED_PAD src0_sel:DWORD src1_sel:BYTE_0
	v_lshl_add_u32 v20, v20, 4, v211
	ds_write_b128 v20, v[16:19]
	ds_write_b128 v20, v[12:15] offset:208
	ds_write_b128 v20, v[4:7] offset:416
	ds_write_b128 v20, v[0:3] offset:624
	ds_write_b128 v20, v[8:11] offset:832
.LBB0_21:
	s_or_b64 exec, exec, s[22:23]
	s_waitcnt lgkmcnt(0)
	s_barrier
	ds_read_b128 v[0:3], v212
	ds_read_b128 v[4:7], v212 offset:1040
	ds_read_b128 v[8:11], v212 offset:2080
	ds_read_b128 v[12:15], v212 offset:3120
	ds_read_b128 v[16:19], v212 offset:4160
	ds_read_b128 v[20:23], v212 offset:5200
	s_waitcnt lgkmcnt(4)
	v_mul_f64 v[38:39], v[58:59], v[4:5]
	s_waitcnt lgkmcnt(3)
	v_mul_f64 v[42:43], v[54:55], v[8:9]
	ds_read_b128 v[24:27], v212 offset:6240
	ds_read_b128 v[28:31], v212 offset:7280
	;; [unrolled: 1-line block ×3, first 2 shown]
	v_mul_f64 v[36:37], v[58:59], v[6:7]
	v_mul_f64 v[40:41], v[54:55], v[10:11]
	s_waitcnt lgkmcnt(5)
	v_mul_f64 v[54:55], v[50:51], v[14:15]
	v_mul_f64 v[50:51], v[50:51], v[12:13]
	s_mov_b32 s9, 0x3fe491b7
	v_fma_f64 v[6:7], v[56:57], v[6:7], -v[38:39]
	s_waitcnt lgkmcnt(4)
	v_mul_f64 v[38:39], v[46:47], v[16:17]
	v_fma_f64 v[10:11], v[52:53], v[10:11], -v[42:43]
	s_waitcnt lgkmcnt(0)
	v_mul_f64 v[42:43], v[74:75], v[32:33]
	v_fma_f64 v[4:5], v[56:57], v[4:5], v[36:37]
	v_mul_f64 v[36:37], v[46:47], v[18:19]
	v_fma_f64 v[8:9], v[52:53], v[8:9], v[40:41]
	v_mul_f64 v[40:41], v[74:75], v[34:35]
	v_mul_f64 v[46:47], v[66:67], v[20:21]
	v_fma_f64 v[18:19], v[44:45], v[18:19], -v[38:39]
	v_mul_f64 v[38:39], v[70:71], v[28:29]
	v_fma_f64 v[34:35], v[72:73], v[34:35], -v[42:43]
	v_mul_f64 v[42:43], v[62:63], v[24:25]
	v_fma_f64 v[16:17], v[44:45], v[16:17], v[36:37]
	v_mul_f64 v[36:37], v[70:71], v[30:31]
	v_fma_f64 v[32:33], v[72:73], v[32:33], v[40:41]
	s_mov_b32 s8, 0x523c161c
	v_fma_f64 v[14:15], v[48:49], v[14:15], -v[50:51]
	v_fma_f64 v[30:31], v[68:69], v[30:31], -v[38:39]
	v_add_f64 v[38:39], v[6:7], -v[34:35]
	v_mul_f64 v[44:45], v[66:67], v[22:23]
	v_mul_f64 v[40:41], v[62:63], v[26:27]
	v_fma_f64 v[28:29], v[68:69], v[28:29], v[36:37]
	v_fma_f64 v[22:23], v[64:65], v[22:23], -v[46:47]
	v_add_f64 v[36:37], v[4:5], -v[32:33]
	v_fma_f64 v[26:27], v[60:61], v[26:27], -v[42:43]
	v_add_f64 v[42:43], v[10:11], -v[30:31]
	v_mul_f64 v[46:47], v[38:39], s[8:9]
	v_add_f64 v[32:33], v[4:5], v[32:33]
	s_mov_b32 s10, 0x8c811c17
	s_mov_b32 s16, 0xa2cf5039
	;; [unrolled: 1-line block ×4, first 2 shown]
	v_fma_f64 v[12:13], v[48:49], v[12:13], v[54:55]
	v_fma_f64 v[20:21], v[64:65], v[20:21], v[44:45]
	;; [unrolled: 1-line block ×3, first 2 shown]
	v_add_f64 v[40:41], v[8:9], -v[28:29]
	v_mul_f64 v[44:45], v[36:37], s[8:9]
	v_add_f64 v[34:35], v[6:7], v[34:35]
	v_add_f64 v[50:51], v[14:15], -v[26:27]
	v_fma_f64 v[6:7], v[42:43], s[10:11], v[46:47]
	v_add_f64 v[28:29], v[8:9], v[28:29]
	v_fma_f64 v[8:9], v[32:33], s[16:17], v[0:1]
	s_mov_b32 s2, 0xe8584cab
	s_mov_b32 s18, 0x7e0b738b
	;; [unrolled: 1-line block ×4, first 2 shown]
	v_add_f64 v[48:49], v[12:13], -v[24:25]
	v_fma_f64 v[4:5], v[40:41], s[10:11], v[44:45]
	v_add_f64 v[10:11], v[10:11], v[30:31]
	v_add_f64 v[24:25], v[12:13], v[24:25]
	v_fma_f64 v[6:7], v[50:51], s[2:3], v[6:7]
	v_fma_f64 v[12:13], v[34:35], s[16:17], v[2:3]
	v_add_f64 v[30:31], v[16:17], -v[20:21]
	v_add_f64 v[44:45], v[18:19], -v[22:23]
	v_add_f64 v[46:47], v[16:17], v[20:21]
	v_add_f64 v[52:53], v[18:19], v[22:23]
	v_fma_f64 v[8:9], v[28:29], s[18:19], v[8:9]
	s_mov_b32 s20, 0x748a0bf8
	s_mov_b32 s9, 0xbfe491b7
	;; [unrolled: 1-line block ×3, first 2 shown]
	v_add_f64 v[26:27], v[14:15], v[26:27]
	v_fma_f64 v[12:13], v[10:11], s[18:19], v[12:13]
	v_mul_f64 v[14:15], v[30:31], s[8:9]
	v_mul_f64 v[54:55], v[44:45], s[8:9]
	v_fma_f64 v[56:57], v[46:47], s[16:17], v[0:1]
	v_fma_f64 v[58:59], v[52:53], s[16:17], v[2:3]
	;; [unrolled: 1-line block ×3, first 2 shown]
	v_fma_f64 v[6:7], v[24:25], -0.5, v[8:9]
	s_mov_b32 s24, 0x42522d1b
	s_mov_b32 s25, 0xbfee11f6
	v_fma_f64 v[4:5], v[48:49], s[2:3], v[4:5]
	v_fma_f64 v[8:9], v[26:27], -0.5, v[12:13]
	v_fma_f64 v[12:13], v[36:37], s[10:11], v[14:15]
	v_fma_f64 v[14:15], v[38:39], s[10:11], v[54:55]
	;; [unrolled: 1-line block ×5, first 2 shown]
	s_mov_b32 s23, 0xbfebb67a
	s_mov_b32 s22, s2
	v_fma_f64 v[58:59], v[30:31], s[20:21], v[4:5]
	v_fma_f64 v[12:13], v[48:49], s[22:23], v[12:13]
	v_fma_f64 v[14:15], v[50:51], s[22:23], v[14:15]
	v_fma_f64 v[54:55], v[24:25], -0.5, v[54:55]
	v_fma_f64 v[56:57], v[26:27], -0.5, v[56:57]
	v_fma_f64 v[8:9], v[52:53], s[24:25], v[8:9]
	v_add_f64 v[4:5], v[6:7], -v[60:61]
	v_fma_f64 v[66:67], v[10:11], s[16:17], v[2:3]
	v_add_f64 v[68:69], v[0:1], v[24:25]
	v_fma_f64 v[62:63], v[40:41], s[20:21], v[12:13]
	v_fma_f64 v[64:65], v[42:43], s[20:21], v[14:15]
	;; [unrolled: 1-line block ×4, first 2 shown]
	v_add_f64 v[54:55], v[30:31], v[36:37]
	v_add_f64 v[6:7], v[58:59], v[8:9]
	v_fma_f64 v[8:9], v[60:61], 2.0, v[4:5]
	v_add_f64 v[56:57], v[44:45], v[38:39]
	v_mul_f64 v[30:31], v[30:31], s[10:11]
	v_mul_f64 v[44:45], v[44:45], s[10:11]
	v_fma_f64 v[60:61], v[28:29], s[16:17], v[0:1]
	v_add_f64 v[28:29], v[28:29], v[32:33]
	v_add_f64 v[10:11], v[10:11], v[34:35]
	v_add_f64 v[54:55], v[54:55], -v[40:41]
	v_add_f64 v[12:13], v[12:13], -v[64:65]
	;; [unrolled: 1-line block ×3, first 2 shown]
	v_fma_f64 v[30:31], v[40:41], s[8:9], -v[30:31]
	v_fma_f64 v[40:41], v[42:43], s[8:9], -v[44:45]
	v_fma_f64 v[42:43], v[46:47], s[18:19], v[60:61]
	v_fma_f64 v[44:45], v[52:53], s[18:19], v[66:67]
	v_add_f64 v[66:67], v[24:25], v[28:29]
	v_add_f64 v[70:71], v[26:27], v[10:11]
	;; [unrolled: 1-line block ×4, first 2 shown]
	v_fma_f64 v[30:31], v[48:49], s[2:3], v[30:31]
	v_fma_f64 v[40:41], v[50:51], s[2:3], v[40:41]
	v_fma_f64 v[24:25], v[24:25], -0.5, v[42:43]
	v_fma_f64 v[26:27], v[26:27], -0.5, v[44:45]
	v_add_f64 v[10:11], v[52:53], v[10:11]
	v_add_f64 v[16:17], v[16:17], v[66:67]
	;; [unrolled: 1-line block ×3, first 2 shown]
	v_fma_f64 v[28:29], v[28:29], -0.5, v[68:69]
	v_fma_f64 v[30:31], v[36:37], s[20:21], v[30:31]
	v_fma_f64 v[36:37], v[38:39], s[20:21], v[40:41]
	;; [unrolled: 1-line block ×4, first 2 shown]
	v_fma_f64 v[10:11], v[10:11], -0.5, v[60:61]
	v_add_f64 v[32:33], v[20:21], v[16:17]
	v_add_f64 v[34:35], v[22:23], v[18:19]
	v_mul_f64 v[38:39], v[54:55], s[2:3]
	v_mul_f64 v[40:41], v[56:57], s[2:3]
	v_fma_f64 v[16:17], v[56:57], s[22:23], v[28:29]
	v_add_f64 v[20:21], v[24:25], -v[36:37]
	v_add_f64 v[22:23], v[30:31], v[26:27]
	v_fma_f64 v[18:19], v[54:55], s[2:3], v[10:11]
	v_add_f64 v[14:15], v[62:63], v[14:15]
	v_add_f64 v[0:1], v[0:1], v[32:33]
	;; [unrolled: 1-line block ×3, first 2 shown]
	v_fma_f64 v[24:25], v[64:65], 2.0, v[12:13]
	v_fma_f64 v[28:29], v[40:41], 2.0, v[16:17]
	;; [unrolled: 1-line block ×3, first 2 shown]
	v_fma_f64 v[34:35], v[30:31], -2.0, v[22:23]
	v_fma_f64 v[30:31], v[38:39], -2.0, v[18:19]
	;; [unrolled: 1-line block ×4, first 2 shown]
	ds_write_b128 v213, v[0:3]
	ds_write_b128 v213, v[4:7] offset:1040
	ds_write_b128 v213, v[12:15] offset:2080
	ds_write_b128 v213, v[16:19] offset:3120
	ds_write_b128 v213, v[20:23] offset:4160
	ds_write_b128 v213, v[32:35] offset:5200
	ds_write_b128 v213, v[28:31] offset:6240
	ds_write_b128 v213, v[24:27] offset:7280
	ds_write_b128 v213, v[8:11] offset:8320
	s_waitcnt lgkmcnt(0)
	s_barrier
	s_and_b64 exec, exec, s[0:1]
	s_cbranch_execz .LBB0_23
; %bb.22:
	global_load_dwordx4 v[0:3], v210, s[14:15]
	global_load_dwordx4 v[4:7], v210, s[14:15] offset:720
	global_load_dwordx4 v[8:11], v210, s[14:15] offset:1440
	;; [unrolled: 1-line block ×4, first 2 shown]
	ds_read_b128 v[20:23], v213
	ds_read_b128 v[24:27], v213 offset:720
	ds_read_b128 v[28:31], v213 offset:1440
	ds_read_b128 v[32:35], v213 offset:2160
	global_load_dwordx4 v[36:39], v210, s[14:15] offset:3600
	v_mov_b32_e32 v48, s15
	v_mad_u64_u32 v[74:75], s[2:3], s4, v209, 0
	v_add_co_u32_e32 v90, vcc, s14, v210
	v_mad_u64_u32 v[72:73], s[0:1], s6, v136, 0
	s_mul_hi_u32 s6, s4, 0x2d0
	s_mul_i32 s2, s4, 0x2d0
	s_movk_i32 s4, 0x1000
	v_addc_co_u32_e32 v91, vcc, 0, v48, vcc
	v_add_co_u32_e32 v76, vcc, s4, v90
	v_addc_co_u32_e32 v77, vcc, 0, v91, vcc
	ds_read_b128 v[40:43], v213 offset:2880
	ds_read_b128 v[44:47], v213 offset:3600
	global_load_dwordx4 v[48:51], v[76:77], off offset:224
	global_load_dwordx4 v[52:55], v[76:77], off offset:944
	;; [unrolled: 1-line block ×4, first 2 shown]
	s_mul_i32 s3, s5, 0x2d0
	v_mov_b32_e32 v64, v73
	v_mov_b32_e32 v65, v75
	s_add_i32 s3, s6, s3
	v_mad_u64_u32 v[78:79], s[6:7], s7, v136, v[64:65]
	v_mad_u64_u32 v[79:80], s[4:5], s5, v209, v[65:66]
	v_mov_b32_e32 v73, v78
	v_lshlrev_b64 v[72:73], 4, v[72:73]
	global_load_dwordx4 v[64:67], v[76:77], off offset:3104
	global_load_dwordx4 v[68:71], v[76:77], off offset:3824
	v_mov_b32_e32 v75, v79
	v_mov_b32_e32 v81, s13
	v_lshlrev_b64 v[74:75], 4, v[74:75]
	v_add_co_u32_e32 v72, vcc, s12, v72
	v_addc_co_u32_e32 v73, vcc, v81, v73, vcc
	v_add_co_u32_e32 v72, vcc, v72, v74
	v_addc_co_u32_e32 v73, vcc, v73, v75, vcc
	v_mov_b32_e32 v82, s3
	v_add_co_u32_e32 v74, vcc, s2, v72
	v_addc_co_u32_e32 v75, vcc, v73, v82, vcc
	v_mov_b32_e32 v83, s3
	;; [unrolled: 3-line block ×3, first 2 shown]
	v_add_co_u32_e32 v78, vcc, s2, v76
	v_addc_co_u32_e32 v79, vcc, v77, v84, vcc
	s_mov_b32 s0, 0x1c01c01c
	s_mov_b32 s1, 0x3f5c01c0
	s_movk_i32 s4, 0x2000
	s_waitcnt vmcnt(11) lgkmcnt(5)
	v_mul_f64 v[80:81], v[22:23], v[2:3]
	v_mul_f64 v[2:3], v[20:21], v[2:3]
	s_waitcnt vmcnt(10) lgkmcnt(4)
	v_mul_f64 v[82:83], v[26:27], v[6:7]
	v_mul_f64 v[6:7], v[24:25], v[6:7]
	;; [unrolled: 3-line block ×4, first 2 shown]
	v_fma_f64 v[20:21], v[20:21], v[0:1], v[80:81]
	v_fma_f64 v[2:3], v[0:1], v[22:23], -v[2:3]
	v_fma_f64 v[22:23], v[24:25], v[4:5], v[82:83]
	v_fma_f64 v[6:7], v[4:5], v[26:27], -v[6:7]
	;; [unrolled: 2-line block ×4, first 2 shown]
	s_waitcnt vmcnt(7) lgkmcnt(1)
	v_mul_f64 v[88:89], v[42:43], v[18:19]
	v_mul_f64 v[18:19], v[40:41], v[18:19]
	;; [unrolled: 1-line block ×10, first 2 shown]
	v_fma_f64 v[20:21], v[40:41], v[16:17], v[88:89]
	v_fma_f64 v[16:17], v[16:17], v[42:43], -v[18:19]
	s_waitcnt vmcnt(6) lgkmcnt(0)
	v_mul_f64 v[18:19], v[46:47], v[38:39]
	v_mul_f64 v[22:23], v[44:45], v[38:39]
	global_store_dwordx4 v[72:73], v[0:3], off
	global_store_dwordx4 v[74:75], v[4:7], off
	;; [unrolled: 1-line block ×4, first 2 shown]
	ds_read_b128 v[4:7], v213 offset:4320
	ds_read_b128 v[8:11], v213 offset:5040
	v_mul_f64 v[0:1], v[20:21], s[0:1]
	v_mul_f64 v[2:3], v[16:17], s[0:1]
	v_fma_f64 v[12:13], v[44:45], v[36:37], v[18:19]
	v_fma_f64 v[14:15], v[36:37], v[46:47], -v[22:23]
	s_waitcnt vmcnt(9) lgkmcnt(1)
	v_mul_f64 v[16:17], v[6:7], v[50:51]
	v_mul_f64 v[18:19], v[4:5], v[50:51]
	v_mov_b32_e32 v21, s3
	v_add_co_u32_e32 v20, vcc, s2, v78
	v_addc_co_u32_e32 v21, vcc, v79, v21, vcc
	global_store_dwordx4 v[20:21], v[0:3], off
	v_fma_f64 v[4:5], v[4:5], v[48:49], v[16:17]
	v_mul_f64 v[0:1], v[12:13], s[0:1]
	v_mul_f64 v[2:3], v[14:15], s[0:1]
	v_fma_f64 v[6:7], v[48:49], v[6:7], -v[18:19]
	s_waitcnt vmcnt(9) lgkmcnt(0)
	v_mul_f64 v[12:13], v[10:11], v[54:55]
	v_mul_f64 v[14:15], v[8:9], v[54:55]
	v_mov_b32_e32 v22, s3
	v_add_co_u32_e32 v16, vcc, s2, v20
	v_addc_co_u32_e32 v17, vcc, v21, v22, vcc
	global_store_dwordx4 v[16:17], v[0:3], off
	v_fma_f64 v[12:13], v[8:9], v[52:53], v[12:13]
	v_mul_f64 v[0:1], v[4:5], s[0:1]
	v_mul_f64 v[2:3], v[6:7], s[0:1]
	ds_read_b128 v[4:7], v213 offset:5760
	v_fma_f64 v[14:15], v[52:53], v[10:11], -v[14:15]
	ds_read_b128 v[8:11], v213 offset:6480
	v_add_co_u32_e32 v16, vcc, s2, v16
	s_waitcnt vmcnt(9) lgkmcnt(1)
	v_mul_f64 v[18:19], v[6:7], v[58:59]
	v_mul_f64 v[20:21], v[4:5], v[58:59]
	v_addc_co_u32_e32 v17, vcc, v17, v22, vcc
	global_store_dwordx4 v[16:17], v[0:3], off
	v_add_co_u32_e32 v16, vcc, s2, v16
	v_mul_f64 v[0:1], v[12:13], s[0:1]
	v_mul_f64 v[2:3], v[14:15], s[0:1]
	v_fma_f64 v[4:5], v[4:5], v[56:57], v[18:19]
	v_fma_f64 v[6:7], v[56:57], v[6:7], -v[20:21]
	s_waitcnt vmcnt(9) lgkmcnt(0)
	v_mul_f64 v[12:13], v[10:11], v[62:63]
	v_mul_f64 v[14:15], v[8:9], v[62:63]
	v_addc_co_u32_e32 v17, vcc, v17, v22, vcc
	v_mov_b32_e32 v18, s3
	global_store_dwordx4 v[16:17], v[0:3], off
	v_add_co_u32_e32 v16, vcc, s2, v16
	v_mul_f64 v[0:1], v[4:5], s[0:1]
	v_mul_f64 v[2:3], v[6:7], s[0:1]
	v_fma_f64 v[12:13], v[8:9], v[60:61], v[12:13]
	v_fma_f64 v[14:15], v[60:61], v[10:11], -v[14:15]
	ds_read_b128 v[4:7], v213 offset:7200
	ds_read_b128 v[8:11], v213 offset:7920
	v_addc_co_u32_e32 v17, vcc, v17, v18, vcc
	s_waitcnt vmcnt(9) lgkmcnt(1)
	v_mul_f64 v[18:19], v[6:7], v[66:67]
	v_mul_f64 v[20:21], v[4:5], v[66:67]
	s_waitcnt vmcnt(8) lgkmcnt(0)
	v_mul_f64 v[22:23], v[10:11], v[70:71]
	v_mul_f64 v[24:25], v[8:9], v[70:71]
	global_store_dwordx4 v[16:17], v[0:3], off
	v_fma_f64 v[4:5], v[4:5], v[64:65], v[18:19]
	v_mul_f64 v[0:1], v[12:13], s[0:1]
	v_mul_f64 v[2:3], v[14:15], s[0:1]
	v_fma_f64 v[6:7], v[64:65], v[6:7], -v[20:21]
	v_fma_f64 v[8:9], v[8:9], v[68:69], v[22:23]
	v_fma_f64 v[10:11], v[68:69], v[10:11], -v[24:25]
	v_mov_b32_e32 v13, s3
	v_add_co_u32_e32 v12, vcc, s2, v16
	v_addc_co_u32_e32 v13, vcc, v17, v13, vcc
	global_store_dwordx4 v[12:13], v[0:3], off
	v_mov_b32_e32 v14, s3
	v_mul_f64 v[0:1], v[4:5], s[0:1]
	v_mul_f64 v[2:3], v[6:7], s[0:1]
	;; [unrolled: 1-line block ×4, first 2 shown]
	v_add_co_u32_e32 v8, vcc, s2, v12
	v_addc_co_u32_e32 v9, vcc, v13, v14, vcc
	global_store_dwordx4 v[8:9], v[0:3], off
	s_nop 0
	v_mov_b32_e32 v0, s3
	v_add_co_u32_e32 v8, vcc, s2, v8
	v_addc_co_u32_e32 v9, vcc, v9, v0, vcc
	v_add_co_u32_e32 v0, vcc, s4, v90
	global_store_dwordx4 v[8:9], v[4:7], off
	v_addc_co_u32_e32 v1, vcc, 0, v91, vcc
	global_load_dwordx4 v[0:3], v[0:1], off offset:448
	ds_read_b128 v[4:7], v213 offset:8640
	s_waitcnt vmcnt(0) lgkmcnt(0)
	v_mul_f64 v[10:11], v[6:7], v[2:3]
	v_mul_f64 v[2:3], v[4:5], v[2:3]
	v_fma_f64 v[4:5], v[4:5], v[0:1], v[10:11]
	v_fma_f64 v[2:3], v[0:1], v[6:7], -v[2:3]
	v_mul_f64 v[0:1], v[4:5], s[0:1]
	v_mul_f64 v[2:3], v[2:3], s[0:1]
	v_mov_b32_e32 v5, s3
	v_add_co_u32_e32 v4, vcc, s2, v8
	v_addc_co_u32_e32 v5, vcc, v9, v5, vcc
	global_store_dwordx4 v[4:5], v[0:3], off
.LBB0_23:
	s_endpgm
	.section	.rodata,"a",@progbits
	.p2align	6, 0x0
	.amdhsa_kernel bluestein_single_back_len585_dim1_dp_op_CI_CI
		.amdhsa_group_segment_fixed_size 28080
		.amdhsa_private_segment_fixed_size 0
		.amdhsa_kernarg_size 104
		.amdhsa_user_sgpr_count 6
		.amdhsa_user_sgpr_private_segment_buffer 1
		.amdhsa_user_sgpr_dispatch_ptr 0
		.amdhsa_user_sgpr_queue_ptr 0
		.amdhsa_user_sgpr_kernarg_segment_ptr 1
		.amdhsa_user_sgpr_dispatch_id 0
		.amdhsa_user_sgpr_flat_scratch_init 0
		.amdhsa_user_sgpr_private_segment_size 0
		.amdhsa_uses_dynamic_stack 0
		.amdhsa_system_sgpr_private_segment_wavefront_offset 0
		.amdhsa_system_sgpr_workgroup_id_x 1
		.amdhsa_system_sgpr_workgroup_id_y 0
		.amdhsa_system_sgpr_workgroup_id_z 0
		.amdhsa_system_sgpr_workgroup_info 0
		.amdhsa_system_vgpr_workitem_id 0
		.amdhsa_next_free_vgpr 250
		.amdhsa_next_free_sgpr 52
		.amdhsa_reserve_vcc 1
		.amdhsa_reserve_flat_scratch 0
		.amdhsa_float_round_mode_32 0
		.amdhsa_float_round_mode_16_64 0
		.amdhsa_float_denorm_mode_32 3
		.amdhsa_float_denorm_mode_16_64 3
		.amdhsa_dx10_clamp 1
		.amdhsa_ieee_mode 1
		.amdhsa_fp16_overflow 0
		.amdhsa_exception_fp_ieee_invalid_op 0
		.amdhsa_exception_fp_denorm_src 0
		.amdhsa_exception_fp_ieee_div_zero 0
		.amdhsa_exception_fp_ieee_overflow 0
		.amdhsa_exception_fp_ieee_underflow 0
		.amdhsa_exception_fp_ieee_inexact 0
		.amdhsa_exception_int_div_zero 0
	.end_amdhsa_kernel
	.text
.Lfunc_end0:
	.size	bluestein_single_back_len585_dim1_dp_op_CI_CI, .Lfunc_end0-bluestein_single_back_len585_dim1_dp_op_CI_CI
                                        ; -- End function
	.section	.AMDGPU.csdata,"",@progbits
; Kernel info:
; codeLenInByte = 17464
; NumSgprs: 56
; NumVgprs: 250
; ScratchSize: 0
; MemoryBound: 0
; FloatMode: 240
; IeeeMode: 1
; LDSByteSize: 28080 bytes/workgroup (compile time only)
; SGPRBlocks: 6
; VGPRBlocks: 62
; NumSGPRsForWavesPerEU: 56
; NumVGPRsForWavesPerEU: 250
; Occupancy: 1
; WaveLimiterHint : 1
; COMPUTE_PGM_RSRC2:SCRATCH_EN: 0
; COMPUTE_PGM_RSRC2:USER_SGPR: 6
; COMPUTE_PGM_RSRC2:TRAP_HANDLER: 0
; COMPUTE_PGM_RSRC2:TGID_X_EN: 1
; COMPUTE_PGM_RSRC2:TGID_Y_EN: 0
; COMPUTE_PGM_RSRC2:TGID_Z_EN: 0
; COMPUTE_PGM_RSRC2:TIDIG_COMP_CNT: 0
	.type	__hip_cuid_a55aab4136c49d6e,@object ; @__hip_cuid_a55aab4136c49d6e
	.section	.bss,"aw",@nobits
	.globl	__hip_cuid_a55aab4136c49d6e
__hip_cuid_a55aab4136c49d6e:
	.byte	0                               ; 0x0
	.size	__hip_cuid_a55aab4136c49d6e, 1

	.ident	"AMD clang version 19.0.0git (https://github.com/RadeonOpenCompute/llvm-project roc-6.4.0 25133 c7fe45cf4b819c5991fe208aaa96edf142730f1d)"
	.section	".note.GNU-stack","",@progbits
	.addrsig
	.addrsig_sym __hip_cuid_a55aab4136c49d6e
	.amdgpu_metadata
---
amdhsa.kernels:
  - .args:
      - .actual_access:  read_only
        .address_space:  global
        .offset:         0
        .size:           8
        .value_kind:     global_buffer
      - .actual_access:  read_only
        .address_space:  global
        .offset:         8
        .size:           8
        .value_kind:     global_buffer
      - .actual_access:  read_only
        .address_space:  global
        .offset:         16
        .size:           8
        .value_kind:     global_buffer
      - .actual_access:  read_only
        .address_space:  global
        .offset:         24
        .size:           8
        .value_kind:     global_buffer
      - .actual_access:  read_only
        .address_space:  global
        .offset:         32
        .size:           8
        .value_kind:     global_buffer
      - .offset:         40
        .size:           8
        .value_kind:     by_value
      - .address_space:  global
        .offset:         48
        .size:           8
        .value_kind:     global_buffer
      - .address_space:  global
        .offset:         56
        .size:           8
        .value_kind:     global_buffer
      - .address_space:  global
        .offset:         64
        .size:           8
        .value_kind:     global_buffer
      - .address_space:  global
        .offset:         72
        .size:           8
        .value_kind:     global_buffer
      - .offset:         80
        .size:           4
        .value_kind:     by_value
      - .address_space:  global
        .offset:         88
        .size:           8
        .value_kind:     global_buffer
      - .address_space:  global
        .offset:         96
        .size:           8
        .value_kind:     global_buffer
    .group_segment_fixed_size: 28080
    .kernarg_segment_align: 8
    .kernarg_segment_size: 104
    .language:       OpenCL C
    .language_version:
      - 2
      - 0
    .max_flat_workgroup_size: 195
    .name:           bluestein_single_back_len585_dim1_dp_op_CI_CI
    .private_segment_fixed_size: 0
    .sgpr_count:     56
    .sgpr_spill_count: 0
    .symbol:         bluestein_single_back_len585_dim1_dp_op_CI_CI.kd
    .uniform_work_group_size: 1
    .uses_dynamic_stack: false
    .vgpr_count:     250
    .vgpr_spill_count: 0
    .wavefront_size: 64
amdhsa.target:   amdgcn-amd-amdhsa--gfx906
amdhsa.version:
  - 1
  - 2
...

	.end_amdgpu_metadata
